;; amdgpu-corpus repo=ROCm/rocFFT kind=compiled arch=gfx906 opt=O3
	.text
	.amdgcn_target "amdgcn-amd-amdhsa--gfx906"
	.amdhsa_code_object_version 6
	.protected	bluestein_single_fwd_len595_dim1_sp_op_CI_CI ; -- Begin function bluestein_single_fwd_len595_dim1_sp_op_CI_CI
	.globl	bluestein_single_fwd_len595_dim1_sp_op_CI_CI
	.p2align	8
	.type	bluestein_single_fwd_len595_dim1_sp_op_CI_CI,@function
bluestein_single_fwd_len595_dim1_sp_op_CI_CI: ; @bluestein_single_fwd_len595_dim1_sp_op_CI_CI
; %bb.0:
	v_mul_u32_u24_e32 v1, 0xf10, v0
	s_mov_b64 s[22:23], s[2:3]
	s_load_dwordx4 s[8:11], s[4:5], 0x28
	v_lshrrev_b32_e32 v1, 16, v1
	s_mov_b64 s[20:21], s[0:1]
	v_mad_u64_u32 v[15:16], s[0:1], s6, 3, v[1:2]
	v_mov_b32_e32 v16, 0
	s_add_u32 s20, s20, s7
	s_waitcnt lgkmcnt(0)
	v_cmp_gt_u64_e32 vcc, s[8:9], v[15:16]
	s_addc_u32 s21, s21, 0
	s_and_saveexec_b64 s[0:1], vcc
	s_cbranch_execz .LBB0_10
; %bb.1:
	s_load_dwordx4 s[16:19], s[4:5], 0x18
	v_mul_lo_u16_e32 v1, 17, v1
	v_sub_u16_e32 v243, v0, v1
                                        ; implicit-def: $vgpr110
                                        ; implicit-def: $vgpr104
                                        ; implicit-def: $vgpr112
                                        ; implicit-def: $vgpr120
                                        ; implicit-def: $vgpr176
                                        ; implicit-def: $vgpr162
                                        ; implicit-def: $vgpr166
                                        ; implicit-def: $vgpr170
	s_waitcnt lgkmcnt(0)
	s_load_dwordx4 s[12:15], s[16:17], 0x0
	s_movk_i32 s16, 0x1000
	s_waitcnt lgkmcnt(0)
	v_mad_u64_u32 v[0:1], s[0:1], s14, v15, 0
	v_mad_u64_u32 v[2:3], s[0:1], s12, v243, 0
	s_mul_i32 s6, s13, 0x2a8
	s_mul_hi_u32 s14, s12, 0x2a8
	v_mad_u64_u32 v[4:5], s[0:1], s15, v15, v[1:2]
	s_add_i32 s14, s14, s6
	s_mul_i32 s15, s12, 0x2a8
	v_mad_u64_u32 v[5:6], s[0:1], s13, v243, v[3:4]
	v_mov_b32_e32 v1, v4
	v_lshlrev_b64 v[0:1], 3, v[0:1]
	v_mov_b32_e32 v3, v5
	v_mov_b32_e32 v6, s11
	v_lshlrev_b64 v[2:3], 3, v[2:3]
	v_add_co_u32_e32 v0, vcc, s10, v0
	v_addc_co_u32_e32 v1, vcc, v6, v1, vcc
	v_add_co_u32_e32 v4, vcc, v0, v2
	s_load_dwordx4 s[0:3], s[4:5], 0x0
	v_addc_co_u32_e32 v5, vcc, v1, v3, vcc
	v_mov_b32_e32 v8, s14
	v_add_co_u32_e32 v3, vcc, s15, v4
	global_load_dwordx2 v[6:7], v[4:5], off
	v_addc_co_u32_e32 v4, vcc, v5, v8, vcc
	v_mov_b32_e32 v5, s14
	v_add_co_u32_e32 v8, vcc, s15, v3
	v_lshlrev_b32_e32 v2, 3, v243
	v_addc_co_u32_e32 v9, vcc, v4, v5, vcc
	s_waitcnt lgkmcnt(0)
	global_load_dwordx2 v[25:26], v2, s[0:1]
	global_load_dwordx2 v[23:24], v2, s[0:1] offset:680
	global_load_dwordx2 v[10:11], v[3:4], off
	global_load_dwordx2 v[12:13], v[8:9], off
	global_load_dwordx2 v[21:22], v2, s[0:1] offset:1360
	v_mov_b32_e32 v4, s14
	v_add_co_u32_e32 v3, vcc, s15, v8
	v_addc_co_u32_e32 v4, vcc, v9, v4, vcc
	v_mov_b32_e32 v14, s1
	v_add_co_u32_e32 v30, vcc, s0, v2
	s_mov_b32 s6, 0xaaaaaaab
	v_addc_co_u32_e32 v31, vcc, 0, v14, vcc
	v_mov_b32_e32 v14, v15
	global_load_dwordx2 v[19:20], v2, s[0:1] offset:2040
	global_load_dwordx2 v[8:9], v[3:4], off
	v_mul_hi_u32 v5, v15, s6
	s_load_dwordx2 s[6:7], s[4:5], 0x38
	s_load_dwordx4 s[8:11], s[18:19], 0x0
	global_load_dwordx2 v[56:57], v2, s[0:1] offset:2720
	global_load_dwordx2 v[46:47], v2, s[0:1] offset:1496
	global_load_dwordx2 v[64:65], v2, s[0:1] offset:816
	global_load_dwordx2 v[42:43], v2, s[0:1] offset:952
	global_load_dwordx2 v[66:67], v2, s[0:1] offset:136
	global_load_dwordx2 v[44:45], v2, s[0:1] offset:272
	global_load_dwordx2 v[62:63], v2, s[0:1] offset:408
	global_load_dwordx2 v[60:61], v2, s[0:1] offset:1088
	global_load_dwordx2 v[72:73], v2, s[0:1] offset:1632
	global_load_dwordx2 v[54:55], v2, s[0:1] offset:1768
	global_load_dwordx2 v[52:53], v2, s[0:1] offset:544
	global_load_dwordx2 v[50:51], v2, s[0:1] offset:1224
	global_load_dwordx2 v[48:49], v2, s[0:1] offset:1904
	s_nop 0
	buffer_store_dword v14, off, s[20:23], 0 offset:164 ; 4-byte Folded Spill
	s_nop 0
	buffer_store_dword v15, off, s[20:23], 0 offset:168 ; 4-byte Folded Spill
	v_lshrrev_b32_e32 v5, 1, v5
	v_lshl_add_u32 v5, v5, 1, v5
	v_add_co_u32_e32 v3, vcc, s15, v3
	v_mov_b32_e32 v18, s14
	s_mul_hi_u32 s5, s12, 0xfffff098
	s_mul_i32 s4, s13, 0xfffff098
	s_sub_i32 s5, s5, s12
	s_add_i32 s4, s5, s4
	s_mul_i32 s5, s12, 0xfffff098
	s_waitcnt vmcnt(21)
	v_mul_f32_e32 v16, v6, v26
	v_sub_u32_e32 v5, v15, v5
	v_mul_u32_u24_e32 v5, 0x253, v5
	v_lshlrev_b32_e32 v217, 3, v5
	v_mov_b32_e32 v5, s14
	v_addc_co_u32_e32 v4, vcc, v4, v5, vcc
	v_mul_f32_e32 v5, v7, v26
	global_load_dwordx2 v[14:15], v[3:4], off
	v_fmac_f32_e32 v5, v6, v25
	buffer_store_dword v25, off, s[20:23], 0 offset:196 ; 4-byte Folded Spill
	s_nop 0
	buffer_store_dword v26, off, s[20:23], 0 offset:200 ; 4-byte Folded Spill
	v_add_u32_e32 v255, v2, v217
	v_add_co_u32_e32 v3, vcc, s15, v3
	v_addc_co_u32_e32 v4, vcc, v4, v18, vcc
	v_fma_f32 v6, v7, v25, -v16
	s_waitcnt vmcnt(22)
	v_mul_f32_e32 v16, v11, v24
	v_mul_f32_e32 v7, v10, v24
	v_fmac_f32_e32 v16, v10, v23
	buffer_store_dword v23, off, s[20:23], 0 offset:188 ; 4-byte Folded Spill
	s_nop 0
	buffer_store_dword v24, off, s[20:23], 0 offset:192 ; 4-byte Folded Spill
	s_waitcnt vmcnt(22)
	v_mul_f32_e32 v10, v13, v22
	v_fmac_f32_e32 v10, v12, v21
	v_fma_f32 v17, v11, v23, -v7
	v_mul_f32_e32 v7, v12, v22
	ds_write_b64 v255, v[16:17] offset:680
	buffer_store_dword v21, off, s[20:23], 0 offset:172 ; 4-byte Folded Spill
	s_nop 0
	buffer_store_dword v22, off, s[20:23], 0 offset:176 ; 4-byte Folded Spill
	s_waitcnt vmcnt(22)
	v_mul_f32_e32 v12, v8, v20
	v_fma_f32 v11, v13, v21, -v7
	v_mul_f32_e32 v7, v9, v20
	ds_write_b64 v255, v[10:11] offset:1360
	v_fmac_f32_e32 v7, v8, v19
	buffer_store_dword v19, off, s[20:23], 0 offset:156 ; 4-byte Folded Spill
	s_nop 0
	buffer_store_dword v20, off, s[20:23], 0 offset:160 ; 4-byte Folded Spill
	v_mov_b32_e32 v11, s14
	v_mov_b32_e32 v13, s4
	v_fma_f32 v8, v9, v19, -v12
	global_load_dwordx2 v[9:10], v[3:4], off
	global_load_dwordx2 v[70:71], v2, s[0:1] offset:3400
	v_add_co_u32_e32 v3, vcc, s15, v3
	v_addc_co_u32_e32 v4, vcc, v4, v11, vcc
	global_load_dwordx2 v[11:12], v[3:4], off
	global_load_dwordx2 v[76:77], v2, s[0:1] offset:4080
	v_add_co_u32_e32 v3, vcc, s5, v3
	v_addc_co_u32_e32 v4, vcc, v4, v13, vcc
	global_load_dwordx2 v[16:17], v[3:4], off
	v_mov_b32_e32 v13, s14
	v_add_co_u32_e32 v3, vcc, s15, v3
	v_addc_co_u32_e32 v4, vcc, v4, v13, vcc
	global_load_dwordx2 v[18:19], v[3:4], off
	v_add_co_u32_e32 v3, vcc, s15, v3
	v_addc_co_u32_e32 v4, vcc, v4, v13, vcc
	global_load_dwordx2 v[20:21], v[3:4], off
	;; [unrolled: 3-line block ×3, first 2 shown]
	global_load_dwordx2 v[88:89], v2, s[0:1] offset:2176
	v_add_co_u32_e32 v3, vcc, s15, v3
	v_addc_co_u32_e32 v4, vcc, v4, v13, vcc
	global_load_dwordx2 v[24:25], v[3:4], off
	global_load_dwordx2 v[86:87], v2, s[0:1] offset:2856
	v_add_co_u32_e32 v3, vcc, s15, v3
	v_addc_co_u32_e32 v4, vcc, v4, v13, vcc
	global_load_dwordx2 v[26:27], v[3:4], off
	global_load_dwordx2 v[74:75], v2, s[0:1] offset:3536
	v_add_co_u32_e32 v3, vcc, s15, v3
	v_addc_co_u32_e32 v4, vcc, v4, v13, vcc
	v_add_co_u32_e32 v30, vcc, s16, v30
	v_addc_co_u32_e32 v31, vcc, 0, v31, vcc
	global_load_dwordx2 v[28:29], v[3:4], off
	v_mov_b32_e32 v13, s4
	v_add_co_u32_e32 v3, vcc, s5, v3
	v_addc_co_u32_e32 v4, vcc, v4, v13, vcc
	global_load_dwordx2 v[32:33], v[3:4], off
	v_mov_b32_e32 v13, s14
	v_add_co_u32_e32 v3, vcc, s15, v3
	v_addc_co_u32_e32 v4, vcc, v4, v13, vcc
	global_load_dwordx2 v[34:35], v[3:4], off
	v_add_co_u32_e32 v3, vcc, s15, v3
	v_addc_co_u32_e32 v4, vcc, v4, v13, vcc
	global_load_dwordx2 v[36:37], v[3:4], off
	v_add_co_u32_e32 v3, vcc, s15, v3
	v_addc_co_u32_e32 v4, vcc, v4, v13, vcc
	global_load_dwordx2 v[84:85], v[30:31], off offset:120
	global_load_dwordx2 v[38:39], v[3:4], off
	global_load_dwordx2 v[82:83], v2, s[0:1] offset:2312
	ds_write_b64 v255, v[7:8] offset:2040
	v_mov_b32_e32 v8, s14
	v_add_co_u32_e32 v7, vcc, s15, v3
	v_addc_co_u32_e32 v8, vcc, v4, v8, vcc
	s_waitcnt vmcnt(28)
	v_mul_f32_e32 v3, v15, v57
	global_load_dwordx2 v[40:41], v[7:8], off
	global_load_dwordx2 v[80:81], v2, s[0:1] offset:2992
	global_load_dwordx2 v[68:69], v2, s[0:1] offset:3128
	v_fmac_f32_e32 v3, v14, v56
	v_mul_f32_e32 v4, v14, v57
	buffer_store_dword v56, off, s[20:23], 0 offset:144 ; 4-byte Folded Spill
	s_nop 0
	buffer_store_dword v57, off, s[20:23], 0 offset:148 ; 4-byte Folded Spill
	v_add_co_u32_e32 v222, vcc, 17, v243
	v_add_co_u32_e32 v221, vcc, 34, v243
	;; [unrolled: 1-line block ×3, first 2 shown]
	s_waitcnt vmcnt(12)
	v_mul_f32_e32 v13, v27, v75
	v_fmac_f32_e32 v13, v26, v74
	v_fma_f32 v4, v15, v56, -v4
	ds_write_b64 v255, v[3:4] offset:2720
	v_mul_f32_e32 v3, v10, v71
	global_load_dwordx2 v[78:79], v2, s[0:1] offset:3672
	global_load_dwordx2 v[58:59], v2, s[0:1] offset:3264
	v_fmac_f32_e32 v3, v9, v70
	v_mul_f32_e32 v4, v9, v71
	buffer_store_dword v70, off, s[20:23], 0 offset:288 ; 4-byte Folded Spill
	s_nop 0
	buffer_store_dword v71, off, s[20:23], 0 offset:292 ; 4-byte Folded Spill
	v_mul_f32_e32 v9, v23, v89
	v_fmac_f32_e32 v9, v22, v88
	s_waitcnt vmcnt(11)
	v_mul_f32_e32 v15, v29, v85
	v_fmac_f32_e32 v15, v28, v84
	v_fma_f32 v4, v10, v70, -v4
	ds_write_b64 v255, v[3:4] offset:3400
	v_mul_f32_e32 v3, v12, v77
	global_load_dwordx2 v[70:71], v2, s[0:1] offset:3808
	global_load_dwordx2 v[56:57], v2, s[0:1] offset:3944
	v_fmac_f32_e32 v3, v11, v76
	v_mul_f32_e32 v4, v11, v77
	buffer_store_dword v76, off, s[20:23], 0 offset:280 ; 4-byte Folded Spill
	s_nop 0
	buffer_store_dword v77, off, s[20:23], 0 offset:284 ; 4-byte Folded Spill
	v_mul_f32_e32 v11, v25, v87
	v_fmac_f32_e32 v11, v24, v86
	v_fma_f32 v4, v12, v76, -v4
	ds_write_b64 v255, v[3:4] offset:4080
	v_mul_f32_e32 v3, v17, v67
	v_fmac_f32_e32 v3, v16, v66
	v_mul_f32_e32 v4, v16, v67
	buffer_store_dword v66, off, s[20:23], 0 offset:204 ; 4-byte Folded Spill
	s_nop 0
	buffer_store_dword v67, off, s[20:23], 0 offset:208 ; 4-byte Folded Spill
	v_fma_f32 v4, v17, v66, -v4
	ds_write2_b64 v255, v[5:6], v[3:4] offset1:17
	v_mul_f32_e32 v3, v19, v65
	v_mul_f32_e32 v5, v21, v47
	v_fmac_f32_e32 v3, v18, v64
	v_mul_f32_e32 v4, v18, v65
	buffer_store_dword v64, off, s[20:23], 0 offset:136 ; 4-byte Folded Spill
	s_nop 0
	buffer_store_dword v65, off, s[20:23], 0 offset:140 ; 4-byte Folded Spill
	v_fmac_f32_e32 v5, v20, v46
	v_mul_f32_e32 v6, v20, v47
	buffer_store_dword v46, off, s[20:23], 0 offset:104 ; 4-byte Folded Spill
	s_nop 0
	buffer_store_dword v47, off, s[20:23], 0 offset:108 ; 4-byte Folded Spill
	global_load_dwordx2 v[76:77], v2, s[0:1] offset:2448
	global_load_dwordx2 v[66:67], v2, s[0:1] offset:2584
	v_mul_f32_e32 v2, v22, v89
	buffer_store_dword v88, off, s[20:23], 0 offset:272 ; 4-byte Folded Spill
	s_nop 0
	buffer_store_dword v89, off, s[20:23], 0 offset:276 ; 4-byte Folded Spill
	v_mul_f32_e32 v17, v33, v45
	v_fmac_f32_e32 v17, v32, v44
	v_fma_f32 v4, v19, v64, -v4
	v_mul_f32_e32 v19, v35, v43
	v_fmac_f32_e32 v19, v34, v42
	v_fma_f32 v6, v21, v46, -v6
	v_or_b32_e32 v21, 0x220, v243
	v_fma_f32 v10, v23, v88, -v2
	v_mul_f32_e32 v2, v24, v87
	buffer_store_dword v86, off, s[20:23], 0 offset:264 ; 4-byte Folded Spill
	s_nop 0
	buffer_store_dword v87, off, s[20:23], 0 offset:268 ; 4-byte Folded Spill
	v_fma_f32 v12, v25, v86, -v2
	v_mul_f32_e32 v2, v26, v75
	buffer_store_dword v74, off, s[20:23], 0 offset:256 ; 4-byte Folded Spill
	s_nop 0
	buffer_store_dword v75, off, s[20:23], 0 offset:260 ; 4-byte Folded Spill
	v_fma_f32 v14, v27, v74, -v2
	global_load_dwordx2 v[74:75], v[30:31], off offset:392
	global_load_dwordx2 v[64:65], v[30:31], off offset:528
	v_mul_f32_e32 v2, v28, v85
	buffer_store_dword v84, off, s[20:23], 0 offset:248 ; 4-byte Folded Spill
	s_nop 0
	buffer_store_dword v85, off, s[20:23], 0 offset:252 ; 4-byte Folded Spill
	v_fma_f32 v16, v29, v84, -v2
	v_mul_f32_e32 v2, v32, v45
	buffer_store_dword v44, off, s[20:23], 0 offset:88 ; 4-byte Folded Spill
	s_nop 0
	buffer_store_dword v45, off, s[20:23], 0 offset:92 ; 4-byte Folded Spill
	v_fma_f32 v18, v33, v44, -v2
	;; [unrolled: 5-line block ×3, first 2 shown]
	v_mul_f32_e32 v2, v37, v73
	ds_write2_b64 v255, v[3:4], v[19:20] offset0:102 offset1:119
	v_fmac_f32_e32 v2, v36, v72
	v_mul_f32_e32 v3, v36, v73
	buffer_store_dword v72, off, s[20:23], 0 offset:120 ; 4-byte Folded Spill
	s_nop 0
	buffer_store_dword v73, off, s[20:23], 0 offset:124 ; 4-byte Folded Spill
	v_add_u32_e32 v4, 0x800, v255
	v_mov_b32_e32 v19, s14
	v_addc_co_u32_e32 v8, vcc, v8, v19, vcc
	v_fma_f32 v3, v37, v72, -v3
	ds_write2_b64 v255, v[5:6], v[2:3] offset0:187 offset1:204
	s_waitcnt vmcnt(37)
	v_mul_f32_e32 v2, v39, v83
	v_fmac_f32_e32 v2, v38, v82
	v_mul_f32_e32 v3, v38, v83
	buffer_store_dword v82, off, s[20:23], 0 offset:228 ; 4-byte Folded Spill
	s_nop 0
	buffer_store_dword v83, off, s[20:23], 0 offset:232 ; 4-byte Folded Spill
	v_mad_u64_u32 v[5:6], s[16:17], s12, v21, 0
	global_load_dwordx2 v[19:20], v[7:8], off
	v_fma_f32 v3, v39, v82, -v3
	ds_write2_b64 v4, v[9:10], v[2:3] offset0:16 offset1:33
	v_mov_b32_e32 v3, v6
	v_mad_u64_u32 v[9:10], s[16:17], s13, v21, v[3:4]
	v_mov_b32_e32 v3, 0xfffff340
	s_mulk_i32 s13, 0xf340
	v_mov_b32_e32 v6, v9
	v_lshlrev_b64 v[5:6], 3, v[5:6]
	v_lshlrev_b32_e32 v9, 3, v21
	v_add_co_u32_e32 v0, vcc, v0, v5
	v_addc_co_u32_e32 v1, vcc, v1, v6, vcc
	v_mad_u64_u32 v[5:6], s[16:17], s12, v3, v[7:8]
	s_sub_i32 s12, s13, s12
	v_mov_b32_e32 v3, s14
	v_add_u32_e32 v6, s12, v6
	global_load_dwordx2 v[7:8], v[5:6], off
	v_add_co_u32_e32 v5, vcc, s15, v5
	v_addc_co_u32_e32 v6, vcc, v6, v3, vcc
	buffer_store_dword v9, off, s[20:23], 0 offset:316 ; 4-byte Folded Spill
	global_load_dwordx2 v[72:73], v9, s[0:1]
	s_waitcnt vmcnt(41)
	v_mul_f32_e32 v2, v41, v81
	global_load_dwordx2 v[9:10], v[5:6], off
	v_add_co_u32_e32 v5, vcc, s15, v5
	v_addc_co_u32_e32 v6, vcc, v6, v3, vcc
	buffer_store_dword v21, off, s[20:23], 0 offset:236 ; 4-byte Folded Spill
	global_load_dwordx2 v[21:22], v[5:6], off
	v_add_co_u32_e32 v5, vcc, s15, v5
	v_addc_co_u32_e32 v6, vcc, v6, v3, vcc
	global_load_dwordx2 v[23:24], v[5:6], off
	v_add_co_u32_e32 v5, vcc, s15, v5
	v_addc_co_u32_e32 v6, vcc, v6, v3, vcc
	;; [unrolled: 3-line block ×4, first 2 shown]
	global_load_dwordx2 v[29:30], v[5:6], off
	v_mov_b32_e32 v3, s4
	v_add_co_u32_e32 v5, vcc, s5, v5
	v_addc_co_u32_e32 v6, vcc, v6, v3, vcc
	global_load_dwordx2 v[31:32], v[5:6], off
	v_mov_b32_e32 v3, s14
	v_add_co_u32_e32 v5, vcc, s15, v5
	v_addc_co_u32_e32 v6, vcc, v6, v3, vcc
	global_load_dwordx2 v[33:34], v[5:6], off
	v_add_co_u32_e32 v5, vcc, s15, v5
	v_addc_co_u32_e32 v6, vcc, v6, v3, vcc
	global_load_dwordx2 v[35:36], v[5:6], off
	;; [unrolled: 3-line block ×6, first 2 shown]
	v_fmac_f32_e32 v2, v40, v80
	global_load_dwordx2 v[46:47], v[5:6], off
	v_mul_f32_e32 v3, v40, v81
	buffer_store_dword v80, off, s[20:23], 0 offset:220 ; 4-byte Folded Spill
	s_nop 0
	buffer_store_dword v81, off, s[20:23], 0 offset:224 ; 4-byte Folded Spill
	v_add_u32_e32 v5, 0x1000, v255
	s_mov_b32 s12, 0x3f3bfb3b
	s_mov_b32 s5, 0xbf3bfb3b
	;; [unrolled: 1-line block ×3, first 2 shown]
	s_movk_i32 s4, 0x44
	v_add_co_u32_e32 v220, vcc, s4, v243
	s_mov_b32 s4, 0x3f5ff5aa
	v_add_co_u32_e32 v223, vcc, 51, v243
	v_cmp_eq_u16_e32 vcc, 0, v243
	s_waitcnt vmcnt(13)
	v_mul_f32_e32 v6, v24, v77
	v_fmac_f32_e32 v6, v23, v76
	v_fma_f32 v3, v41, v80, -v3
	ds_write2_b64 v4, v[11:12], v[2:3] offset0:101 offset1:118
	v_mul_f32_e32 v2, v20, v79
	v_fmac_f32_e32 v2, v19, v78
	v_mul_f32_e32 v3, v19, v79
	buffer_store_dword v78, off, s[20:23], 0 offset:212 ; 4-byte Folded Spill
	s_nop 0
	buffer_store_dword v79, off, s[20:23], 0 offset:216 ; 4-byte Folded Spill
	s_waitcnt vmcnt(12)
	v_mul_f32_e32 v12, v30, v75
	v_mul_f32_e32 v11, v27, v71
	v_fmac_f32_e32 v12, v29, v74
	v_fma_f32 v3, v20, v78, -v3
	ds_write2_b64 v4, v[13:14], v[2:3] offset0:186 offset1:203
	s_waitcnt vmcnt(5)
	v_mul_f32_e32 v2, v1, v73
	v_fmac_f32_e32 v2, v0, v72
	v_mul_f32_e32 v0, v0, v73
	buffer_store_dword v72, off, s[20:23], 0 offset:240 ; 4-byte Folded Spill
	s_nop 0
	buffer_store_dword v73, off, s[20:23], 0 offset:244 ; 4-byte Folded Spill
	v_mul_f32_e32 v14, v32, v53
	v_mul_f32_e32 v13, v29, v75
	v_fmac_f32_e32 v14, v31, v52
	v_fma_f32 v3, v1, v72, -v0
	v_mul_f32_e32 v0, v8, v63
	ds_write2_b64 v5, v[15:16], v[2:3] offset0:15 offset1:32
	v_fmac_f32_e32 v0, v7, v62
	v_mul_f32_e32 v1, v7, v63
	buffer_store_dword v62, off, s[20:23], 0 offset:56 ; 4-byte Folded Spill
	s_nop 0
	buffer_store_dword v63, off, s[20:23], 0 offset:60 ; 4-byte Folded Spill
	v_mul_f32_e32 v2, v22, v55
	v_fmac_f32_e32 v2, v21, v54
	v_mul_f32_e32 v3, v21, v55
	v_mul_f32_e32 v7, v23, v77
	;; [unrolled: 1-line block ×3, first 2 shown]
	v_fma_f32 v1, v8, v62, -v1
	ds_write2_b64 v255, v[17:18], v[0:1] offset0:34 offset1:51
	v_mul_f32_e32 v0, v10, v61
	v_fmac_f32_e32 v0, v9, v60
	v_mul_f32_e32 v1, v9, v61
	buffer_store_dword v60, off, s[20:23], 0 offset:48 ; 4-byte Folded Spill
	s_nop 0
	buffer_store_dword v61, off, s[20:23], 0 offset:52 ; 4-byte Folded Spill
	v_mul_f32_e32 v8, v26, v69
	buffer_store_dword v54, off, s[20:23], 0 offset:24 ; 4-byte Folded Spill
	s_nop 0
	buffer_store_dword v55, off, s[20:23], 0 offset:28 ; 4-byte Folded Spill
	buffer_store_dword v76, off, s[20:23], 0 offset:180 ; 4-byte Folded Spill
	s_nop 0
	buffer_store_dword v77, off, s[20:23], 0 offset:184 ; 4-byte Folded Spill
	v_fmac_f32_e32 v8, v25, v68
	v_mul_f32_e32 v9, v25, v69
	buffer_store_dword v68, off, s[20:23], 0 offset:96 ; 4-byte Folded Spill
	s_nop 0
	buffer_store_dword v69, off, s[20:23], 0 offset:100 ; 4-byte Folded Spill
	v_fma_f32 v1, v10, v60, -v1
	v_mul_f32_e32 v10, v28, v71
	v_fmac_f32_e32 v10, v27, v70
	buffer_store_dword v70, off, s[20:23], 0 offset:112 ; 4-byte Folded Spill
	s_nop 0
	buffer_store_dword v71, off, s[20:23], 0 offset:116 ; 4-byte Folded Spill
	buffer_store_dword v74, off, s[20:23], 0 offset:128 ; 4-byte Folded Spill
	s_nop 0
	buffer_store_dword v75, off, s[20:23], 0 offset:132 ; 4-byte Folded Spill
	buffer_store_dword v52, off, s[20:23], 0 offset:16 ; 4-byte Folded Spill
	s_nop 0
	buffer_store_dword v53, off, s[20:23], 0 offset:20 ; 4-byte Folded Spill
	v_fma_f32 v3, v22, v54, -v3
	v_fma_f32 v7, v24, v76, -v7
	;; [unrolled: 1-line block ×3, first 2 shown]
	v_add_u32_e32 v26, 0xc00, v255
	v_fma_f32 v11, v28, v70, -v11
	v_fma_f32 v13, v30, v74, -v13
	;; [unrolled: 1-line block ×3, first 2 shown]
	ds_write_b64 v255, v[14:15] offset:544
	v_mul_f32_e32 v14, v34, v51
	v_fmac_f32_e32 v14, v33, v50
	v_mul_f32_e32 v15, v33, v51
	buffer_store_dword v50, off, s[20:23], 0 offset:8 ; 4-byte Folded Spill
	s_nop 0
	buffer_store_dword v51, off, s[20:23], 0 offset:12 ; 4-byte Folded Spill
	v_fma_f32 v15, v34, v50, -v15
	ds_write2_b64 v255, v[0:1], v[14:15] offset0:136 offset1:153
	v_mul_f32_e32 v0, v36, v49
	v_fmac_f32_e32 v0, v35, v48
	v_mul_f32_e32 v1, v35, v49
	buffer_store_dword v48, off, s[20:23], 0 ; 4-byte Folded Spill
	s_nop 0
	buffer_store_dword v49, off, s[20:23], 0 offset:4 ; 4-byte Folded Spill
	v_fma_f32 v1, v36, v48, -v1
	ds_write2_b64 v255, v[2:3], v[0:1] offset0:221 offset1:238
	v_mul_f32_e32 v0, v38, v67
	v_fmac_f32_e32 v0, v37, v66
	v_mul_f32_e32 v1, v37, v67
	buffer_store_dword v66, off, s[20:23], 0 offset:72 ; 4-byte Folded Spill
	s_nop 0
	buffer_store_dword v67, off, s[20:23], 0 offset:76 ; 4-byte Folded Spill
	v_fma_f32 v1, v38, v66, -v1
	ds_write2_b64 v4, v[6:7], v[0:1] offset0:50 offset1:67
	v_mul_f32_e32 v0, v43, v59
	v_fmac_f32_e32 v0, v42, v58
	v_mul_f32_e32 v1, v42, v59
	buffer_store_dword v58, off, s[20:23], 0 offset:40 ; 4-byte Folded Spill
	;; [unrolled: 8-line block ×3, first 2 shown]
	s_nop 0
	buffer_store_dword v57, off, s[20:23], 0 offset:36 ; 4-byte Folded Spill
	v_fma_f32 v1, v45, v56, -v1
	ds_write2_b64 v4, v[10:11], v[0:1] offset0:220 offset1:237
	s_waitcnt vmcnt(32)
	v_mul_f32_e32 v0, v47, v65
	v_fmac_f32_e32 v0, v46, v64
	v_mul_f32_e32 v1, v46, v65
	buffer_store_dword v64, off, s[20:23], 0 offset:64 ; 4-byte Folded Spill
	s_nop 0
	buffer_store_dword v65, off, s[20:23], 0 offset:68 ; 4-byte Folded Spill
	v_fma_f32 v1, v47, v64, -v1
	ds_write2_b64 v5, v[12:13], v[0:1] offset0:49 offset1:66
	s_waitcnt lgkmcnt(0)
	; wave barrier
	s_waitcnt lgkmcnt(0)
	ds_read2_b64 v[0:3], v255 offset1:17
	ds_read2_b64 v[6:9], v255 offset0:68 offset1:85
	ds_read2_b64 v[10:13], v255 offset0:170 offset1:187
	;; [unrolled: 1-line block ×16, first 2 shown]
	ds_read_b64 v[70:71], v255 offset:4624
	s_waitcnt lgkmcnt(11)
	v_add_f32_e32 v72, v8, v26
	v_sub_f32_e32 v8, v8, v26
	v_add_f32_e32 v73, v9, v27
	v_add_f32_e32 v26, v10, v24
	v_sub_f32_e32 v9, v9, v27
	v_add_f32_e32 v27, v11, v25
	v_sub_f32_e32 v10, v10, v24
	;; [unrolled: 2-line block ×5, first 2 shown]
	v_add_f32_e32 v19, v27, v73
	v_add_f32_e32 v18, v24, v18
	;; [unrolled: 1-line block ×4, first 2 shown]
	v_sub_f32_e32 v74, v26, v72
	v_sub_f32_e32 v75, v27, v73
	;; [unrolled: 1-line block ×6, first 2 shown]
	v_add_f32_e32 v1, v1, v19
	v_mov_b32_e32 v80, v0
	v_add_f32_e32 v76, v16, v10
	v_add_f32_e32 v77, v17, v11
	v_sub_f32_e32 v78, v16, v10
	v_sub_f32_e32 v79, v17, v11
	;; [unrolled: 1-line block ×4, first 2 shown]
	v_mul_f32_e32 v24, 0x3f4a47b2, v72
	v_mul_f32_e32 v25, 0x3f4a47b2, v73
	;; [unrolled: 1-line block ×4, first 2 shown]
	v_fmac_f32_e32 v80, 0xbf955555, v18
	v_mov_b32_e32 v18, v1
	v_sub_f32_e32 v16, v8, v16
	v_sub_f32_e32 v17, v9, v17
	v_add_f32_e32 v8, v76, v8
	v_add_f32_e32 v9, v77, v9
	v_mul_f32_e32 v76, 0xbf08b237, v78
	v_mul_f32_e32 v77, 0xbf08b237, v79
	;; [unrolled: 1-line block ×4, first 2 shown]
	v_fmac_f32_e32 v18, 0xbf955555, v19
	v_fma_f32 v19, v74, s12, -v72
	v_fma_f32 v72, v75, s12, -v73
	;; [unrolled: 1-line block ×3, first 2 shown]
	v_fmac_f32_e32 v24, 0x3d64c772, v26
	v_fma_f32 v26, v75, s5, -v25
	v_fmac_f32_e32 v25, 0x3d64c772, v27
	v_fma_f32 v75, v16, s13, -v78
	v_fma_f32 v78, v17, s13, -v79
	v_add_f32_e32 v79, v24, v80
	v_add_f32_e32 v24, v72, v18
	s_waitcnt lgkmcnt(10)
	v_add_f32_e32 v72, v30, v28
	v_sub_f32_e32 v28, v30, v28
	s_waitcnt lgkmcnt(8)
	v_add_f32_e32 v30, v12, v38
	v_add_f32_e32 v81, v25, v18
	;; [unrolled: 1-line block ×4, first 2 shown]
	v_sub_f32_e32 v29, v31, v29
	v_add_f32_e32 v31, v13, v39
	v_sub_f32_e32 v12, v12, v38
	v_add_f32_e32 v38, v34, v20
	;; [unrolled: 2-line block ×3, first 2 shown]
	v_fma_f32 v27, v10, s4, -v76
	v_fmac_f32_e32 v76, 0x3eae86e6, v16
	v_fma_f32 v74, v11, s4, -v77
	v_sub_f32_e32 v13, v13, v39
	v_add_f32_e32 v39, v35, v21
	v_sub_f32_e32 v21, v21, v35
	v_add_f32_e32 v35, v31, v73
	v_add_f32_e32 v34, v38, v34
	v_fmac_f32_e32 v77, 0x3eae86e6, v17
	v_add_f32_e32 v19, v19, v80
	v_add_f32_e32 v26, v26, v18
	v_fmac_f32_e32 v76, 0x3ee1c552, v8
	v_fmac_f32_e32 v27, 0x3ee1c552, v8
	;; [unrolled: 1-line block ×5, first 2 shown]
	v_add_f32_e32 v35, v39, v35
	v_add_f32_e32 v2, v2, v34
	v_fmac_f32_e32 v77, 0x3ee1c552, v9
	v_sub_f32_e32 v9, v81, v76
	v_add_f32_e32 v10, v78, v25
	v_sub_f32_e32 v11, v26, v75
	v_sub_f32_e32 v16, v19, v74
	v_add_f32_e32 v17, v27, v24
	v_add_f32_e32 v18, v74, v19
	v_sub_f32_e32 v19, v24, v27
	v_sub_f32_e32 v24, v25, v78
	v_add_f32_e32 v25, v75, v26
	v_add_f32_e32 v27, v76, v81
	v_sub_f32_e32 v74, v30, v72
	v_sub_f32_e32 v75, v31, v73
	;; [unrolled: 1-line block ×6, first 2 shown]
	v_add_f32_e32 v76, v20, v12
	v_sub_f32_e32 v78, v20, v12
	v_add_f32_e32 v3, v3, v35
	v_mov_b32_e32 v80, v2
	v_add_f32_e32 v8, v79, v77
	v_sub_f32_e32 v26, v79, v77
	v_add_f32_e32 v77, v21, v13
	v_sub_f32_e32 v79, v21, v13
	v_sub_f32_e32 v20, v28, v20
	;; [unrolled: 1-line block ×4, first 2 shown]
	v_add_f32_e32 v28, v76, v28
	v_mul_f32_e32 v38, 0x3f4a47b2, v72
	v_mul_f32_e32 v39, 0x3f4a47b2, v73
	;; [unrolled: 1-line block ×5, first 2 shown]
	v_fmac_f32_e32 v80, 0xbf955555, v34
	v_mov_b32_e32 v34, v3
	v_sub_f32_e32 v21, v29, v21
	v_add_f32_e32 v29, v77, v29
	v_mul_f32_e32 v77, 0xbf08b237, v79
	v_mul_f32_e32 v78, 0x3f5ff5aa, v12
	;; [unrolled: 1-line block ×3, first 2 shown]
	v_fmac_f32_e32 v34, 0xbf955555, v35
	v_fma_f32 v35, v74, s12, -v72
	v_fma_f32 v72, v75, s12, -v73
	;; [unrolled: 1-line block ×3, first 2 shown]
	v_fmac_f32_e32 v38, 0x3d64c772, v30
	v_fma_f32 v30, v75, s5, -v39
	v_fmac_f32_e32 v39, 0x3d64c772, v31
	v_fma_f32 v31, v12, s4, -v76
	v_fma_f32 v74, v13, s4, -v77
	v_fmac_f32_e32 v77, 0x3eae86e6, v21
	v_fma_f32 v75, v20, s13, -v78
	v_fma_f32 v78, v21, s13, -v79
	v_add_f32_e32 v72, v72, v34
	v_fmac_f32_e32 v31, 0x3ee1c552, v28
	v_fmac_f32_e32 v76, 0x3eae86e6, v20
	v_add_f32_e32 v73, v73, v80
	v_fmac_f32_e32 v77, 0x3ee1c552, v29
	v_fmac_f32_e32 v74, 0x3ee1c552, v29
	;; [unrolled: 1-line block ×3, first 2 shown]
	v_add_f32_e32 v29, v31, v72
	v_sub_f32_e32 v31, v72, v31
	s_waitcnt lgkmcnt(4)
	v_add_f32_e32 v72, v32, v54
	v_sub_f32_e32 v32, v32, v54
	v_add_f32_e32 v54, v46, v40
	v_add_f32_e32 v39, v39, v34
	;; [unrolled: 1-line block ×4, first 2 shown]
	v_fmac_f32_e32 v76, 0x3ee1c552, v28
	v_add_f32_e32 v20, v78, v73
	v_sub_f32_e32 v34, v73, v78
	v_add_f32_e32 v73, v33, v55
	v_sub_f32_e32 v33, v33, v55
	;; [unrolled: 2-line block ×4, first 2 shown]
	v_add_f32_e32 v50, v54, v72
	v_add_f32_e32 v38, v38, v80
	v_fmac_f32_e32 v75, 0x3ee1c552, v28
	v_sub_f32_e32 v13, v39, v76
	v_sub_f32_e32 v28, v35, v74
	v_add_f32_e32 v30, v74, v35
	v_add_f32_e32 v39, v76, v39
	v_sub_f32_e32 v41, v47, v41
	v_add_f32_e32 v47, v37, v51
	v_sub_f32_e32 v37, v51, v37
	;; [unrolled: 2-line block ×3, first 2 shown]
	v_sub_f32_e32 v72, v72, v46
	v_sub_f32_e32 v54, v46, v54
	v_add_f32_e32 v76, v36, v40
	v_add_f32_e32 v46, v46, v50
	v_add_f32_e32 v12, v38, v77
	v_sub_f32_e32 v21, v79, v75
	v_add_f32_e32 v35, v75, v79
	v_sub_f32_e32 v38, v38, v77
	v_sub_f32_e32 v75, v55, v73
	;; [unrolled: 1-line block ×4, first 2 shown]
	v_add_f32_e32 v77, v37, v41
	v_sub_f32_e32 v78, v36, v40
	v_sub_f32_e32 v36, v32, v36
	;; [unrolled: 1-line block ×3, first 2 shown]
	v_add_f32_e32 v47, v47, v51
	v_add_f32_e32 v50, v76, v32
	;; [unrolled: 1-line block ×3, first 2 shown]
	v_sub_f32_e32 v79, v37, v41
	v_sub_f32_e32 v37, v33, v37
	;; [unrolled: 1-line block ×3, first 2 shown]
	v_add_f32_e32 v51, v77, v33
	v_add_f32_e32 v33, v43, v47
	v_mov_b32_e32 v80, v32
	v_mul_f32_e32 v42, 0x3f4a47b2, v72
	v_mul_f32_e32 v43, 0x3f4a47b2, v73
	;; [unrolled: 1-line block ×6, first 2 shown]
	v_fmac_f32_e32 v80, 0xbf955555, v46
	v_mov_b32_e32 v46, v33
	v_mul_f32_e32 v78, 0x3f5ff5aa, v40
	v_mul_f32_e32 v79, 0x3f5ff5aa, v41
	v_fmac_f32_e32 v46, 0xbf955555, v47
	v_fma_f32 v47, v74, s12, -v72
	v_fma_f32 v72, v75, s12, -v73
	;; [unrolled: 1-line block ×3, first 2 shown]
	v_fmac_f32_e32 v42, 0x3d64c772, v54
	v_fma_f32 v54, v75, s5, -v43
	v_fmac_f32_e32 v43, 0x3d64c772, v55
	v_fma_f32 v55, v40, s4, -v76
	v_fma_f32 v74, v41, s4, -v77
	;; [unrolled: 1-line block ×4, first 2 shown]
	v_add_f32_e32 v47, v47, v80
	v_add_f32_e32 v72, v72, v46
	v_fmac_f32_e32 v55, 0x3ee1c552, v50
	v_fmac_f32_e32 v74, 0x3ee1c552, v51
	;; [unrolled: 1-line block ×3, first 2 shown]
	v_add_f32_e32 v79, v42, v80
	v_add_f32_e32 v81, v43, v46
	;; [unrolled: 1-line block ×4, first 2 shown]
	v_fmac_f32_e32 v78, 0x3ee1c552, v51
	v_sub_f32_e32 v42, v47, v74
	v_add_f32_e32 v43, v55, v72
	v_add_f32_e32 v46, v74, v47
	v_sub_f32_e32 v47, v72, v55
	s_waitcnt lgkmcnt(3)
	v_add_f32_e32 v72, v58, v56
	v_sub_f32_e32 v56, v58, v56
	s_waitcnt lgkmcnt(1)
	v_add_f32_e32 v58, v48, v66
	v_fmac_f32_e32 v76, 0x3ee1c552, v50
	v_fmac_f32_e32 v75, 0x3ee1c552, v50
	v_add_f32_e32 v40, v78, v73
	v_sub_f32_e32 v50, v73, v78
	v_add_f32_e32 v73, v59, v57
	v_sub_f32_e32 v57, v59, v57
	;; [unrolled: 2-line block ×6, first 2 shown]
	v_add_f32_e32 v63, v59, v73
	v_add_f32_e32 v62, v66, v62
	v_fmac_f32_e32 v77, 0x3eae86e6, v37
	v_add_f32_e32 v63, v67, v63
	v_add_f32_e32 v44, v44, v62
	v_fmac_f32_e32 v77, 0x3ee1c552, v51
	v_sub_f32_e32 v37, v81, v76
	v_sub_f32_e32 v41, v54, v75
	v_add_f32_e32 v51, v75, v54
	v_add_f32_e32 v55, v76, v81
	v_sub_f32_e32 v74, v58, v72
	v_sub_f32_e32 v75, v59, v73
	;; [unrolled: 1-line block ×6, first 2 shown]
	v_add_f32_e32 v76, v52, v48
	v_sub_f32_e32 v78, v52, v48
	v_add_f32_e32 v45, v45, v63
	v_mov_b32_e32 v80, v44
	v_add_f32_e32 v36, v79, v77
	v_sub_f32_e32 v54, v79, v77
	v_add_f32_e32 v77, v53, v49
	v_sub_f32_e32 v79, v53, v49
	v_sub_f32_e32 v52, v56, v52
	;; [unrolled: 1-line block ×4, first 2 shown]
	v_add_f32_e32 v56, v76, v56
	v_mul_f32_e32 v66, 0x3f4a47b2, v72
	v_mul_f32_e32 v67, 0x3f4a47b2, v73
	;; [unrolled: 1-line block ×5, first 2 shown]
	v_fmac_f32_e32 v80, 0xbf955555, v62
	v_mov_b32_e32 v62, v45
	v_sub_f32_e32 v53, v57, v53
	v_add_f32_e32 v57, v77, v57
	v_mul_f32_e32 v77, 0xbf08b237, v79
	v_mul_f32_e32 v78, 0x3f5ff5aa, v48
	;; [unrolled: 1-line block ×3, first 2 shown]
	v_fmac_f32_e32 v62, 0xbf955555, v63
	v_fma_f32 v63, v74, s12, -v72
	v_fma_f32 v72, v75, s12, -v73
	;; [unrolled: 1-line block ×3, first 2 shown]
	v_fmac_f32_e32 v66, 0x3d64c772, v58
	v_fma_f32 v58, v75, s5, -v67
	v_fmac_f32_e32 v67, 0x3d64c772, v59
	v_fma_f32 v59, v48, s4, -v76
	v_fma_f32 v74, v49, s4, -v77
	v_fmac_f32_e32 v77, 0x3eae86e6, v53
	v_fma_f32 v75, v52, s13, -v78
	v_fma_f32 v78, v53, s13, -v79
	v_add_f32_e32 v72, v72, v62
	v_fmac_f32_e32 v59, 0x3ee1c552, v56
	v_add_f32_e32 v73, v73, v80
	v_fmac_f32_e32 v77, 0x3ee1c552, v57
	v_fmac_f32_e32 v74, 0x3ee1c552, v57
	v_fmac_f32_e32 v78, 0x3ee1c552, v57
	v_add_f32_e32 v57, v59, v72
	v_sub_f32_e32 v59, v72, v59
	s_waitcnt lgkmcnt(0)
	v_add_f32_e32 v72, v60, v70
	v_sub_f32_e32 v60, v60, v70
	v_add_f32_e32 v70, v14, v68
	v_fmac_f32_e32 v76, 0x3eae86e6, v52
	v_add_f32_e32 v67, v67, v62
	v_add_f32_e32 v79, v58, v62
	;; [unrolled: 1-line block ×3, first 2 shown]
	v_sub_f32_e32 v62, v73, v78
	v_add_f32_e32 v73, v61, v71
	v_sub_f32_e32 v61, v61, v71
	v_add_f32_e32 v71, v15, v69
	;; [unrolled: 2-line block ×6, first 2 shown]
	v_add_f32_e32 v64, v68, v64
	v_add_f32_e32 v66, v66, v80
	;; [unrolled: 1-line block ×3, first 2 shown]
	v_fmac_f32_e32 v76, 0x3ee1c552, v56
	v_fmac_f32_e32 v75, 0x3ee1c552, v56
	v_add_f32_e32 v65, v69, v65
	v_add_f32_e32 v6, v6, v64
	;; [unrolled: 1-line block ×3, first 2 shown]
	v_sub_f32_e32 v49, v67, v76
	v_sub_f32_e32 v53, v79, v75
	v_sub_f32_e32 v56, v63, v74
	v_add_f32_e32 v58, v74, v63
	v_add_f32_e32 v63, v75, v79
	v_sub_f32_e32 v66, v66, v77
	v_add_f32_e32 v67, v76, v67
	v_sub_f32_e32 v74, v70, v72
	v_sub_f32_e32 v75, v71, v73
	;; [unrolled: 1-line block ×6, first 2 shown]
	v_add_f32_e32 v76, v22, v14
	v_add_f32_e32 v77, v23, v15
	v_sub_f32_e32 v78, v22, v14
	v_sub_f32_e32 v79, v23, v15
	v_sub_f32_e32 v14, v14, v60
	v_sub_f32_e32 v15, v15, v61
	v_add_f32_e32 v7, v7, v65
	v_mov_b32_e32 v80, v6
	v_sub_f32_e32 v22, v60, v22
	v_sub_f32_e32 v23, v61, v23
	v_add_f32_e32 v60, v76, v60
	v_add_f32_e32 v61, v77, v61
	v_mul_f32_e32 v68, 0x3f4a47b2, v72
	v_mul_f32_e32 v69, 0x3f4a47b2, v73
	;; [unrolled: 1-line block ×8, first 2 shown]
	v_fmac_f32_e32 v80, 0xbf955555, v64
	v_mov_b32_e32 v64, v7
	v_fmac_f32_e32 v64, 0xbf955555, v65
	v_fma_f32 v65, v74, s12, -v72
	v_fma_f32 v72, v75, s12, -v73
	;; [unrolled: 1-line block ×3, first 2 shown]
	v_fmac_f32_e32 v68, 0x3d64c772, v70
	v_fma_f32 v70, v75, s5, -v69
	v_fmac_f32_e32 v69, 0x3d64c772, v71
	v_fma_f32 v71, v14, s4, -v76
	v_fma_f32 v74, v15, s4, -v77
	;; [unrolled: 1-line block ×4, first 2 shown]
	v_fmac_f32_e32 v76, 0x3eae86e6, v22
	v_fmac_f32_e32 v77, 0x3eae86e6, v23
	v_add_f32_e32 v79, v68, v80
	v_add_f32_e32 v81, v69, v64
	;; [unrolled: 1-line block ×6, first 2 shown]
	v_fmac_f32_e32 v71, 0x3ee1c552, v60
	v_fmac_f32_e32 v74, 0x3ee1c552, v61
	;; [unrolled: 1-line block ×6, first 2 shown]
	v_add_f32_e32 v22, v78, v69
	v_sub_f32_e32 v23, v70, v75
	v_sub_f32_e32 v60, v65, v74
	v_add_f32_e32 v61, v71, v68
	v_add_f32_e32 v64, v74, v65
	v_sub_f32_e32 v65, v68, v71
	v_sub_f32_e32 v68, v69, v78
	v_add_f32_e32 v69, v75, v70
	v_mul_lo_u16_e32 v70, 7, v243
	v_lshl_add_u32 v70, v70, 3, v217
	s_waitcnt lgkmcnt(0)
	; wave barrier
	ds_write2_b64 v70, v[0:1], v[8:9] offset1:1
	ds_write2_b64 v70, v[10:11], v[16:17] offset0:2 offset1:3
	ds_write2_b64 v70, v[18:19], v[24:25] offset0:4 offset1:5
	v_mul_u32_u24_e32 v0, 7, v222
	v_lshl_add_u32 v0, v0, 3, v217
	buffer_store_dword v70, off, s[20:23], 0 offset:296 ; 4-byte Folded Spill
	ds_write_b64 v70, v[26:27] offset:48
	ds_write2_b64 v0, v[2:3], v[12:13] offset1:1
	ds_write2_b64 v0, v[20:21], v[28:29] offset0:2 offset1:3
	ds_write2_b64 v0, v[30:31], v[34:35] offset0:4 offset1:5
	buffer_store_dword v0, off, s[20:23], 0 offset:300 ; 4-byte Folded Spill
	ds_write_b64 v0, v[38:39] offset:48
	v_mul_u32_u24_e32 v0, 7, v221
	v_lshl_add_u32 v0, v0, 3, v217
	ds_write2_b64 v0, v[32:33], v[36:37] offset1:1
	ds_write2_b64 v0, v[40:41], v[42:43] offset0:2 offset1:3
	ds_write2_b64 v0, v[46:47], v[50:51] offset0:4 offset1:5
	buffer_store_dword v0, off, s[20:23], 0 offset:304 ; 4-byte Folded Spill
	ds_write_b64 v0, v[54:55] offset:48
	v_mul_u32_u24_e32 v0, 7, v223
	v_lshl_add_u32 v0, v0, 3, v217
	ds_write2_b64 v0, v[44:45], v[48:49] offset1:1
	ds_write2_b64 v0, v[52:53], v[56:57] offset0:2 offset1:3
	ds_write2_b64 v0, v[58:59], v[62:63] offset0:4 offset1:5
	buffer_store_dword v0, off, s[20:23], 0 offset:308 ; 4-byte Folded Spill
	ds_write_b64 v0, v[66:67] offset:48
	v_mul_u32_u24_e32 v0, 7, v220
	v_add_f32_e32 v14, v79, v77
	v_sub_f32_e32 v15, v81, v76
	v_lshl_add_u32 v0, v0, 3, v217
	v_sub_f32_e32 v96, v79, v77
	v_add_f32_e32 v97, v76, v81
	ds_write2_b64 v0, v[6:7], v[14:15] offset1:1
	ds_write2_b64 v0, v[22:23], v[60:61] offset0:2 offset1:3
	ds_write2_b64 v0, v[64:65], v[68:69] offset0:4 offset1:5
	v_add_u32_e32 v6, 0x400, v255
	buffer_store_dword v0, off, s[20:23], 0 offset:312 ; 4-byte Folded Spill
	ds_write_b64 v0, v[96:97] offset:48
	s_waitcnt lgkmcnt(0)
	; wave barrier
	s_waitcnt lgkmcnt(0)
	ds_read2_b64 v[100:103], v255 offset1:17
	ds_read2_b64 v[0:3], v255 offset0:35 offset1:52
	ds_read2_b64 v[172:175], v255 offset0:70 offset1:87
	;; [unrolled: 1-line block ×16, first 2 shown]
	s_and_saveexec_b64 s[4:5], vcc
	s_cbranch_execz .LBB0_3
; %bb.2:
	v_add_u32_e32 v4, 0x400, v217
	ds_read2_b64 v[96:99], v217 offset0:34 offset1:69
	ds_read2_b64 v[168:171], v217 offset0:104 offset1:139
	;; [unrolled: 1-line block ×4, first 2 shown]
	v_add_u32_e32 v4, 0x800, v217
	ds_read2_b64 v[108:111], v4 offset0:58 offset1:93
	ds_read2_b64 v[104:107], v4 offset0:128 offset1:163
	;; [unrolled: 1-line block ×3, first 2 shown]
	v_add_u32_e32 v4, 0x1000, v217
	ds_read2_b64 v[120:123], v4 offset0:12 offset1:47
	ds_read_b64 v[176:177], v217 offset:4752
.LBB0_3:
	s_or_b64 exec, exec, s[4:5]
	v_mov_b32_e32 v4, 37
	v_mul_lo_u16_sdwa v5, v243, v4 dst_sel:DWORD dst_unused:UNUSED_PAD src0_sel:BYTE_0 src1_sel:DWORD
	v_sub_u16_sdwa v6, v243, v5 dst_sel:DWORD dst_unused:UNUSED_PAD src0_sel:DWORD src1_sel:BYTE_1
	v_lshrrev_b16_e32 v6, 1, v6
	v_and_b32_e32 v6, 0x7f, v6
	v_add_u16_sdwa v5, v6, v5 dst_sel:DWORD dst_unused:UNUSED_PAD src0_sel:DWORD src1_sel:BYTE_1
	v_lshrrev_b16_e32 v198, 2, v5
	v_mul_lo_u16_e32 v5, 7, v198
	v_sub_u16_e32 v199, v243, v5
	v_mov_b32_e32 v5, 7
	v_lshlrev_b32_sdwa v6, v5, v199 dst_sel:DWORD dst_unused:UNUSED_PAD src0_sel:DWORD src1_sel:BYTE_0
	global_load_dwordx4 v[56:59], v6, s[2:3]
	global_load_dwordx4 v[48:51], v6, s[2:3] offset:16
	global_load_dwordx4 v[40:43], v6, s[2:3] offset:32
	;; [unrolled: 1-line block ×7, first 2 shown]
	v_mul_lo_u16_sdwa v6, v222, v4 dst_sel:DWORD dst_unused:UNUSED_PAD src0_sel:BYTE_0 src1_sel:DWORD
	v_mul_lo_u16_sdwa v9, v221, v4 dst_sel:DWORD dst_unused:UNUSED_PAD src0_sel:BYTE_0 src1_sel:DWORD
	v_sub_u16_sdwa v4, v222, v6 dst_sel:DWORD dst_unused:UNUSED_PAD src0_sel:DWORD src1_sel:BYTE_1
	v_lshrrev_b16_e32 v4, 1, v4
	v_and_b32_e32 v4, 0x7f, v4
	v_add_u16_sdwa v4, v4, v6 dst_sel:DWORD dst_unused:UNUSED_PAD src0_sel:DWORD src1_sel:BYTE_1
	v_lshrrev_b16_e32 v200, 2, v4
	v_mul_lo_u16_e32 v4, 7, v200
	v_sub_u16_e32 v201, v222, v4
	v_lshlrev_b32_sdwa v4, v5, v201 dst_sel:DWORD dst_unused:UNUSED_PAD src0_sel:DWORD src1_sel:BYTE_0
	global_load_dwordx4 v[80:83], v4, s[2:3] offset:48
	global_load_dwordx4 v[84:87], v4, s[2:3] offset:32
	;; [unrolled: 1-line block ×3, first 2 shown]
	global_load_dwordx4 v[92:95], v4, s[2:3]
	global_load_dwordx4 v[64:67], v4, s[2:3] offset:112
	global_load_dwordx4 v[68:71], v4, s[2:3] offset:96
	;; [unrolled: 1-line block ×4, first 2 shown]
	s_mov_b32 s17, 0xbf7ba420
	s_mov_b32 s16, 0x3f6eb680
	s_mov_b32 s14, 0x3f3d2fb0
	s_mov_b32 s12, 0x3ee437d1
	s_mov_b32 s4, 0x3dbcf732
	s_mov_b32 s5, 0xbe8c1d8e
	s_mov_b32 s13, 0xbf1a4643
	s_mov_b32 s15, 0xbf59a7d5
	s_waitcnt vmcnt(15) lgkmcnt(14)
	v_mul_f32_e32 v4, v1, v57
	v_mul_f32_e32 v14, v0, v57
	v_fma_f32 v215, v0, v56, -v4
	v_sub_u16_sdwa v0, v221, v9 dst_sel:DWORD dst_unused:UNUSED_PAD src0_sel:DWORD src1_sel:BYTE_1
	v_lshrrev_b16_e32 v0, 1, v0
	v_and_b32_e32 v0, 0x7f, v0
	v_add_u16_sdwa v0, v0, v9 dst_sel:DWORD dst_unused:UNUSED_PAD src0_sel:DWORD src1_sel:BYTE_1
	v_lshrrev_b16_e32 v0, 2, v0
	s_waitcnt vmcnt(12) lgkmcnt(8)
	v_mul_f32_e32 v179, v23, v35
	v_mul_lo_u16_e32 v0, 7, v0
	v_mul_f32_e32 v182, v22, v35
	v_fma_f32 v184, v22, v34, -v179
	v_sub_u16_e32 v22, v221, v0
	v_lshlrev_b16_e32 v0, 4, v22
	v_and_b32_e32 v0, 0xf0, v0
	v_mul_f32_e32 v7, v173, v59
	v_mul_f32_e32 v8, v19, v49
	;; [unrolled: 1-line block ×3, first 2 shown]
	s_waitcnt vmcnt(9) lgkmcnt(3)
	v_mul_f32_e32 v202, v133, v45
	s_waitcnt lgkmcnt(2)
	v_mul_f32_e32 v203, v129, v47
	v_lshlrev_b32_e32 v9, 3, v0
	v_mul_f32_e32 v16, v18, v49
	v_mul_f32_e32 v5, v10, v51
	v_fma_f32 v216, v172, v58, -v7
	v_fma_f32 v18, v18, v48, -v8
	;; [unrolled: 1-line block ×5, first 2 shown]
	global_load_dwordx4 v[234:237], v9, s[2:3] offset:16
	global_load_dwordx4 v[202:205], v9, s[2:3]
	s_waitcnt vmcnt(10) lgkmcnt(1)
	v_mul_f32_e32 v0, v125, v37
	v_fmac_f32_e32 v5, v11, v50
	v_fma_f32 v11, v124, v36, -v0
	s_waitcnt lgkmcnt(0)
	v_mul_f32_e32 v0, v117, v39
	v_mul_f32_e32 v180, v149, v61
	;; [unrolled: 1-line block ×3, first 2 shown]
	v_fmac_f32_e32 v16, v19, v48
	v_fma_f32 v19, v116, v38, -v0
	s_waitcnt vmcnt(6)
	v_mul_f32_e32 v0, v3, v93
	v_mul_f32_e32 v187, v137, v55
	v_fma_f32 v185, v148, v60, -v180
	v_fma_f32 v191, v144, v62, -v181
	;; [unrolled: 1-line block ×3, first 2 shown]
	v_mul_f32_e32 v181, v2, v93
	s_waitcnt vmcnt(2)
	v_mul_f32_e32 v2, v151, v77
	v_mul_f32_e32 v178, v153, v33
	;; [unrolled: 1-line block ×3, first 2 shown]
	v_fma_f32 v4, v136, v54, -v187
	v_mul_f32_e32 v0, v175, v95
	v_fma_f32 v136, v150, v76, -v2
	v_mul_f32_e32 v2, v147, v79
	v_mul_f32_e32 v15, v172, v59
	;; [unrolled: 1-line block ×3, first 2 shown]
	v_fma_f32 v190, v152, v32, -v178
	v_fma_f32 v178, v174, v94, -v0
	v_mul_f32_e32 v0, v21, v89
	v_fma_f32 v148, v146, v78, -v2
	v_mul_f32_e32 v146, v146, v79
	v_mul_f32_e32 v2, v143, v73
	;; [unrolled: 1-line block ×3, first 2 shown]
	v_fmac_f32_e32 v15, v173, v58
	v_fmac_f32_e32 v196, v137, v54
	v_fma_f32 v173, v20, v88, -v0
	v_mul_f32_e32 v0, v13, v91
	v_mul_f32_e32 v137, v150, v77
	v_fmac_f32_e32 v146, v147, v78
	v_fma_f32 v147, v142, v72, -v2
	v_mul_f32_e32 v2, v139, v75
	v_mul_f32_e32 v30, v157, v41
	;; [unrolled: 1-line block ×4, first 2 shown]
	v_fmac_f32_e32 v195, v157, v40
	v_fma_f32 v157, v12, v90, -v0
	v_mul_f32_e32 v0, v159, v85
	v_fmac_f32_e32 v137, v151, v76
	v_fma_f32 v151, v138, v74, -v2
	v_mul_f32_e32 v138, v138, v75
	v_mul_f32_e32 v2, v135, v69
	v_fmac_f32_e32 v188, v153, v32
	v_fmac_f32_e32 v189, v145, v62
	global_load_dwordx4 v[230:233], v9, s[2:3] offset:48
	global_load_dwordx4 v[226:229], v9, s[2:3] offset:32
	v_fma_f32 v153, v158, v84, -v0
	v_mul_f32_e32 v0, v29, v87
	v_mul_f32_e32 v145, v154, v81
	v_fmac_f32_e32 v138, v139, v74
	v_fma_f32 v139, v134, v68, -v2
	v_mul_f32_e32 v2, v131, v71
	v_fma_f32 v197, v156, v40, -v30
	v_fmac_f32_e32 v183, v149, v60
	v_mul_f32_e32 v156, v158, v85
	v_fma_f32 v149, v28, v86, -v0
	v_mul_f32_e32 v0, v155, v81
	v_fmac_f32_e32 v145, v155, v80
	v_fma_f32 v155, v130, v70, -v2
	v_mul_f32_e32 v2, v127, v65
	v_mul_f32_e32 v186, v141, v53
	v_fmac_f32_e32 v156, v159, v84
	v_fma_f32 v159, v126, v64, -v2
	v_mul_f32_e32 v2, v119, v67
	v_mul_f32_e32 v31, v27, v43
	;; [unrolled: 1-line block ×4, first 2 shown]
	v_fmac_f32_e32 v14, v1, v56
	v_fma_f32 v140, v140, v52, -v186
	v_fmac_f32_e32 v181, v3, v92
	v_mul_f32_e32 v152, v28, v87
	v_fma_f32 v144, v154, v80, -v0
	v_mul_f32_e32 v0, v25, v83
	v_mul_f32_e32 v1, v24, v83
	v_fma_f32 v186, v118, v66, -v2
	s_waitcnt vmcnt(2)
	v_mul_f32_e32 v2, v99, v203
	v_mul_f32_e32 v206, v98, v203
	;; [unrolled: 1-line block ×3, first 2 shown]
	v_fma_f32 v194, v26, v42, -v31
	v_fmac_f32_e32 v192, v27, v42
	global_load_dwordx4 v[244:247], v9, s[2:3] offset:80
	global_load_dwordx4 v[238:241], v9, s[2:3] offset:64
	v_fmac_f32_e32 v152, v29, v86
	v_fma_f32 v0, v24, v82, -v0
	v_fmac_f32_e32 v1, v25, v82
	global_load_dwordx4 v[28:31], v9, s[2:3] offset:112
	global_load_dwordx4 v[24:27], v9, s[2:3] offset:96
	v_fma_f32 v2, v98, v202, -v2
	v_fmac_f32_e32 v206, v99, v202
	v_fma_f32 v3, v168, v204, -v3
	v_mul_f32_e32 v208, v168, v205
	buffer_store_dword v202, off, s[20:23], 0 offset:384 ; 4-byte Folded Spill
	s_nop 0
	buffer_store_dword v203, off, s[20:23], 0 offset:388 ; 4-byte Folded Spill
	buffer_store_dword v204, off, s[20:23], 0 offset:392 ; 4-byte Folded Spill
	;; [unrolled: 1-line block ×3, first 2 shown]
	v_mul_f32_e32 v9, v171, v235
	v_fma_f32 v202, v170, v234, -v9
	v_mul_f32_e32 v9, v165, v237
	v_fma_f32 v203, v164, v236, -v9
	v_mul_f32_e32 v210, v170, v235
	v_fmac_f32_e32 v210, v171, v234
	v_mul_f32_e32 v212, v164, v237
	buffer_store_dword v234, off, s[20:23], 0 offset:352 ; 4-byte Folded Spill
	s_nop 0
	buffer_store_dword v235, off, s[20:23], 0 offset:356 ; 4-byte Folded Spill
	buffer_store_dword v236, off, s[20:23], 0 offset:360 ; 4-byte Folded Spill
	buffer_store_dword v237, off, s[20:23], 0 offset:364 ; 4-byte Folded Spill
	v_mul_f32_e32 v172, v12, v91
	v_add_f32_e32 v12, v101, v14
	v_add_f32_e32 v12, v12, v15
	;; [unrolled: 1-line block ×6, first 2 shown]
	v_fmac_f32_e32 v182, v23, v34
	v_add_f32_e32 v12, v12, v188
	v_add_f32_e32 v12, v12, v182
	;; [unrolled: 1-line block ×3, first 2 shown]
	v_fmac_f32_e32 v193, v141, v52
	v_add_f32_e32 v12, v12, v189
	v_mul_f32_e32 v6, v132, v45
	v_add_f32_e32 v12, v12, v193
	v_mul_f32_e32 v214, v128, v47
	v_fmac_f32_e32 v6, v133, v44
	v_add_f32_e32 v12, v12, v196
	v_fmac_f32_e32 v214, v129, v46
	v_mul_f32_e32 v17, v124, v37
	v_add_f32_e32 v12, v12, v6
	v_fmac_f32_e32 v17, v125, v36
	v_mul_f32_e32 v116, v116, v39
	v_add_f32_e32 v12, v12, v214
	v_fmac_f32_e32 v116, v117, v38
	v_mul_f32_e32 v179, v174, v95
	v_add_f32_e32 v12, v12, v17
	s_waitcnt vmcnt(12)
	v_mul_f32_e32 v9, v167, v227
	v_mul_f32_e32 v224, v166, v227
	v_fmac_f32_e32 v224, v167, v226
	v_mul_f32_e32 v225, v160, v229
	v_fmac_f32_e32 v179, v175, v94
	v_mul_f32_e32 v175, v126, v65
	v_mul_f32_e32 v187, v118, v67
	v_add_f32_e32 v99, v12, v116
	v_add_f32_e32 v12, v14, v116
	v_sub_f32_e32 v14, v14, v116
	v_fmac_f32_e32 v172, v13, v90
	v_mul_f32_e32 v158, v130, v71
	v_fmac_f32_e32 v175, v127, v64
	v_fmac_f32_e32 v187, v119, v66
	v_sub_f32_e32 v13, v215, v19
	v_mul_f32_e32 v119, 0xbf763a35, v14
	v_mul_f32_e32 v127, 0xbf06c442, v14
	v_fmac_f32_e32 v158, v131, v70
	v_mul_f32_e32 v117, 0xbf7ee86f, v13
	v_mul_f32_e32 v125, 0xbf4c4adb, v13
	;; [unrolled: 1-line block ×3, first 2 shown]
	v_mov_b32_e32 v118, v117
	v_mov_b32_e32 v126, v125
	;; [unrolled: 1-line block ×3, first 2 shown]
	v_fmac_f32_e32 v118, 0x3dbcf732, v12
	v_fma_f32 v117, v12, s4, -v117
	v_fmac_f32_e32 v126, 0xbf1a4643, v12
	v_fma_f32 v125, v12, s13, -v125
	v_fmac_f32_e32 v130, 0xbf59a7d5, v12
	v_fma_f32 v129, v12, s15, -v129
	v_add_f32_e32 v118, v101, v118
	v_add_f32_e32 v117, v101, v117
	;; [unrolled: 1-line block ×4, first 2 shown]
	s_waitcnt vmcnt(11)
	v_mul_f32_e32 v235, v106, v245
	v_fmac_f32_e32 v235, v107, v244
	v_mul_f32_e32 v237, v112, v247
	v_add_f32_e32 v130, v101, v130
	v_add_f32_e32 v129, v101, v129
	v_mul_f32_e32 v154, v134, v69
	v_fmac_f32_e32 v154, v135, v68
	v_fmac_f32_e32 v208, v169, v204
	v_fma_f32 v204, v166, v226, -v9
	v_mul_f32_e32 v9, v161, v229
	v_fma_f32 v205, v160, v228, -v9
	buffer_store_dword v226, off, s[20:23], 0 offset:336 ; 4-byte Folded Spill
	s_nop 0
	buffer_store_dword v227, off, s[20:23], 0 offset:340 ; 4-byte Folded Spill
	buffer_store_dword v228, off, s[20:23], 0 offset:344 ; 4-byte Folded Spill
	buffer_store_dword v229, off, s[20:23], 0 offset:348 ; 4-byte Folded Spill
	v_mul_f32_e32 v9, v163, v231
	v_fma_f32 v207, v162, v230, -v9
	v_mul_f32_e32 v227, v162, v231
	v_mul_f32_e32 v9, v109, v233
	v_fmac_f32_e32 v227, v163, v230
	v_fma_f32 v209, v108, v232, -v9
	v_mul_f32_e32 v229, v108, v233
	buffer_store_dword v230, off, s[20:23], 0 offset:320 ; 4-byte Folded Spill
	s_nop 0
	buffer_store_dword v231, off, s[20:23], 0 offset:324 ; 4-byte Folded Spill
	buffer_store_dword v232, off, s[20:23], 0 offset:328 ; 4-byte Folded Spill
	;; [unrolled: 1-line block ×3, first 2 shown]
	s_waitcnt vmcnt(18)
	v_mul_f32_e32 v9, v111, v239
	v_fma_f32 v211, v110, v238, -v9
	v_mul_f32_e32 v231, v110, v239
	v_mul_f32_e32 v9, v105, v241
	v_fmac_f32_e32 v231, v111, v238
	v_fma_f32 v213, v104, v240, -v9
	v_mul_f32_e32 v233, v104, v241
	buffer_store_dword v238, off, s[20:23], 0 offset:368 ; 4-byte Folded Spill
	s_nop 0
	buffer_store_dword v239, off, s[20:23], 0 offset:372 ; 4-byte Folded Spill
	buffer_store_dword v240, off, s[20:23], 0 offset:376 ; 4-byte Folded Spill
	;; [unrolled: 1-line block ×3, first 2 shown]
	v_mul_f32_e32 v9, v107, v245
	v_fma_f32 v226, v106, v244, -v9
	v_mul_f32_e32 v9, v113, v247
	v_fmac_f32_e32 v212, v165, v236
	s_waitcnt vmcnt(20)
	v_mul_f32_e32 v238, v114, v25
	v_fmac_f32_e32 v238, v115, v24
	v_mul_f32_e32 v239, v120, v27
	v_mul_f32_e32 v107, 0xbf2c7751, v14
	;; [unrolled: 1-line block ×3, first 2 shown]
	v_fmac_f32_e32 v239, v121, v26
	v_mul_f32_e32 v150, v142, v73
	v_fmac_f32_e32 v150, v143, v72
	v_mul_f32_e32 v174, v20, v89
	;; [unrolled: 2-line block ×3, first 2 shown]
	v_fmac_f32_e32 v241, v177, v30
	v_fmac_f32_e32 v225, v161, v228
	v_fma_f32 v228, v112, v246, -v9
	buffer_store_dword v244, off, s[20:23], 0 offset:400 ; 4-byte Folded Spill
	s_nop 0
	buffer_store_dword v245, off, s[20:23], 0 offset:404 ; 4-byte Folded Spill
	buffer_store_dword v246, off, s[20:23], 0 offset:408 ; 4-byte Folded Spill
	;; [unrolled: 1-line block ×3, first 2 shown]
	v_mul_f32_e32 v9, v115, v25
	v_fma_f32 v230, v114, v24, -v9
	v_mul_f32_e32 v9, v121, v27
	v_mul_f32_e32 v115, 0xbf7ee86f, v14
	;; [unrolled: 1-line block ×3, first 2 shown]
	v_fmac_f32_e32 v229, v109, v232
	v_fma_f32 v232, v120, v26, -v9
	v_mul_f32_e32 v9, v123, v29
	v_fma_f32 v234, v122, v28, -v9
	v_mul_f32_e32 v9, v177, v31
	v_fma_f32 v236, v176, v30, -v9
	v_add_f32_e32 v9, v100, v215
	v_add_f32_e32 v9, v9, v216
	v_add_f32_e32 v9, v9, v18
	v_add_f32_e32 v9, v9, v7
	v_add_f32_e32 v9, v9, v197
	v_add_f32_e32 v9, v9, v194
	v_add_f32_e32 v9, v9, v190
	v_add_f32_e32 v9, v9, v184
	v_add_f32_e32 v9, v9, v185
	v_add_f32_e32 v9, v9, v191
	v_add_f32_e32 v9, v9, v140
	v_add_f32_e32 v9, v9, v4
	v_add_f32_e32 v9, v9, v8
	v_add_f32_e32 v9, v9, v10
	v_fmac_f32_e32 v233, v105, v240
	v_mul_f32_e32 v240, v122, v29
	v_add_f32_e32 v9, v9, v11
	v_fmac_f32_e32 v240, v123, v28
	v_add_f32_e32 v98, v9, v19
	v_add_f32_e32 v9, v215, v19
	v_mul_f32_e32 v19, 0xbeb8f4ab, v14
	v_mul_f32_e32 v123, 0xbf4c4adb, v14
	;; [unrolled: 1-line block ×5, first 2 shown]
	v_fma_f32 v131, v9, s17, -v14
	v_fmac_f32_e32 v14, 0xbf7ba420, v9
	v_fma_f32 v104, v9, s16, -v19
	v_mov_b32_e32 v106, v105
	v_fmac_f32_e32 v19, 0x3f6eb680, v9
	v_fma_f32 v108, v9, s14, -v107
	v_mov_b32_e32 v110, v109
	v_fmac_f32_e32 v107, 0x3f3d2fb0, v9
	v_fma_f32 v112, v9, s12, -v111
	v_fmac_f32_e32 v111, 0x3ee437d1, v9
	v_fma_f32 v116, v9, s4, -v115
	;; [unrolled: 2-line block ×3, first 2 shown]
	v_mov_b32_e32 v122, v121
	v_fmac_f32_e32 v119, 0xbe8c1d8e, v9
	v_fma_f32 v124, v9, s13, -v123
	v_fmac_f32_e32 v123, 0xbf1a4643, v9
	v_fma_f32 v128, v9, s15, -v127
	v_fmac_f32_e32 v127, 0xbf59a7d5, v9
	v_add_f32_e32 v9, v100, v14
	v_add_f32_e32 v14, v15, v17
	v_sub_f32_e32 v15, v15, v17
	v_fmac_f32_e32 v106, 0x3f6eb680, v12
	v_fma_f32 v105, v12, s16, -v105
	v_fmac_f32_e32 v110, 0x3f3d2fb0, v12
	v_fma_f32 v109, v12, s14, -v109
	;; [unrolled: 2-line block ×3, first 2 shown]
	v_mul_f32_e32 v17, 0xbf2c7751, v15
	v_add_f32_e32 v104, v100, v104
	v_add_f32_e32 v106, v101, v106
	;; [unrolled: 1-line block ×11, first 2 shown]
	v_fmac_f32_e32 v237, v113, v246
	v_mul_f32_e32 v113, 0xbf65296c, v13
	v_mul_f32_e32 v13, 0xbe3c28d5, v13
	v_mov_b32_e32 v114, v113
	v_mov_b32_e32 v132, v13
	v_fmac_f32_e32 v114, 0x3ee437d1, v12
	v_fma_f32 v113, v12, s12, -v113
	v_fmac_f32_e32 v132, 0xbf7ba420, v12
	v_fma_f32 v12, v12, s17, -v13
	v_add_f32_e32 v13, v216, v11
	v_sub_f32_e32 v11, v216, v11
	v_add_f32_e32 v114, v101, v114
	v_add_f32_e32 v113, v101, v113
	v_add_f32_e32 v115, v100, v115
	v_add_f32_e32 v120, v100, v120
	v_add_f32_e32 v122, v101, v122
	v_add_f32_e32 v119, v100, v119
	v_add_f32_e32 v121, v101, v121
	v_add_f32_e32 v124, v100, v124
	v_add_f32_e32 v123, v100, v123
	v_add_f32_e32 v128, v100, v128
	v_add_f32_e32 v127, v100, v127
	v_add_f32_e32 v131, v100, v131
	v_add_f32_e32 v132, v101, v132
	v_add_f32_e32 v12, v101, v12
	v_fma_f32 v100, v13, s14, -v17
	v_mul_f32_e32 v101, 0xbf2c7751, v11
	v_add_f32_e32 v100, v100, v104
	v_mov_b32_e32 v104, v101
	v_fmac_f32_e32 v17, 0x3f3d2fb0, v13
	v_fmac_f32_e32 v104, 0x3f3d2fb0, v14
	v_add_f32_e32 v17, v17, v19
	v_fma_f32 v19, v14, s14, -v101
	v_mul_f32_e32 v101, 0xbf7ee86f, v15
	v_add_f32_e32 v104, v104, v106
	v_add_f32_e32 v19, v19, v105
	v_fma_f32 v105, v13, s4, -v101
	v_mul_f32_e32 v106, 0xbf7ee86f, v11
	v_add_f32_e32 v105, v105, v108
	v_mov_b32_e32 v108, v106
	v_fmac_f32_e32 v101, 0x3dbcf732, v13
	v_fmac_f32_e32 v108, 0x3dbcf732, v14
	v_add_f32_e32 v101, v101, v107
	v_fma_f32 v106, v14, s4, -v106
	v_mul_f32_e32 v107, 0xbf4c4adb, v15
	v_add_f32_e32 v108, v108, v110
	v_add_f32_e32 v106, v106, v109
	;; [unrolled: 11-line block ×6, first 2 shown]
	v_fma_f32 v125, v13, s12, -v123
	v_mul_f32_e32 v126, 0x3f65296c, v11
	v_add_f32_e32 v125, v125, v128
	v_mov_b32_e32 v128, v126
	v_fma_f32 v126, v14, s12, -v126
	v_mul_f32_e32 v11, 0x3eb8f4ab, v11
	v_fmac_f32_e32 v123, 0x3ee437d1, v13
	v_add_f32_e32 v126, v126, v129
	v_mul_f32_e32 v15, 0x3eb8f4ab, v15
	v_mov_b32_e32 v129, v11
	v_fmac_f32_e32 v128, 0x3ee437d1, v14
	v_add_f32_e32 v123, v123, v127
	v_fma_f32 v127, v13, s16, -v15
	v_fmac_f32_e32 v129, 0x3f6eb680, v14
	v_fmac_f32_e32 v15, 0x3f6eb680, v13
	v_fma_f32 v11, v14, s16, -v11
	v_sub_f32_e32 v14, v16, v214
	v_add_f32_e32 v9, v15, v9
	v_add_f32_e32 v11, v11, v12
	;; [unrolled: 1-line block ×3, first 2 shown]
	v_sub_f32_e32 v10, v18, v10
	v_mul_f32_e32 v15, 0xbf65296c, v14
	v_add_f32_e32 v13, v16, v214
	v_fma_f32 v16, v12, s12, -v15
	v_mul_f32_e32 v18, 0xbf65296c, v10
	v_add_f32_e32 v16, v16, v100
	v_mov_b32_e32 v100, v18
	v_fmac_f32_e32 v15, 0x3ee437d1, v12
	v_fmac_f32_e32 v100, 0x3ee437d1, v13
	v_add_f32_e32 v15, v15, v17
	v_fma_f32 v17, v13, s12, -v18
	v_mul_f32_e32 v18, 0xbf4c4adb, v14
	v_add_f32_e32 v100, v100, v104
	v_add_f32_e32 v17, v17, v19
	v_fma_f32 v19, v12, s13, -v18
	v_mul_f32_e32 v104, 0xbf4c4adb, v10
	v_add_f32_e32 v19, v19, v105
	v_mov_b32_e32 v105, v104
	v_fmac_f32_e32 v18, 0xbf1a4643, v12
	v_fmac_f32_e32 v105, 0xbf1a4643, v13
	v_add_f32_e32 v18, v18, v101
	v_fma_f32 v101, v13, s13, -v104
	v_mul_f32_e32 v104, 0x3e3c28d5, v14
	v_add_f32_e32 v105, v105, v108
	;; [unrolled: 11-line block ×6, first 2 shown]
	v_add_f32_e32 v119, v119, v122
	v_fma_f32 v122, v12, s4, -v120
	v_mul_f32_e32 v124, 0xbf7ee86f, v10
	v_fmac_f32_e32 v120, 0x3dbcf732, v12
	v_add_f32_e32 v120, v120, v123
	v_fma_f32 v123, v13, s4, -v124
	v_mul_f32_e32 v14, 0xbf06c442, v14
	v_mul_f32_e32 v10, 0xbf06c442, v10
	v_add_f32_e32 v122, v122, v125
	v_mov_b32_e32 v125, v124
	v_add_f32_e32 v123, v123, v126
	v_fma_f32 v124, v12, s15, -v14
	v_mov_b32_e32 v126, v10
	v_fmac_f32_e32 v14, 0xbf59a7d5, v12
	v_fma_f32 v10, v13, s15, -v10
	v_add_f32_e32 v12, v5, v6
	v_sub_f32_e32 v5, v5, v6
	v_add_f32_e32 v10, v10, v11
	v_add_f32_e32 v11, v7, v8
	v_sub_f32_e32 v7, v7, v8
	v_mul_f32_e32 v6, 0xbf7ee86f, v5
	v_fmac_f32_e32 v125, 0x3dbcf732, v13
	v_fmac_f32_e32 v126, 0xbf59a7d5, v13
	v_fma_f32 v8, v11, s4, -v6
	v_mul_f32_e32 v13, 0xbf7ee86f, v7
	v_fmac_f32_e32 v6, 0x3dbcf732, v11
	v_add_f32_e32 v9, v14, v9
	v_mov_b32_e32 v14, v13
	v_add_f32_e32 v6, v6, v15
	v_fma_f32 v13, v12, s4, -v13
	v_mul_f32_e32 v15, 0xbe3c28d5, v5
	v_add_f32_e32 v8, v8, v16
	v_add_f32_e32 v13, v13, v17
	v_fma_f32 v16, v11, s17, -v15
	v_mul_f32_e32 v17, 0xbe3c28d5, v7
	v_fmac_f32_e32 v15, 0xbf7ba420, v11
	v_fmac_f32_e32 v14, 0x3dbcf732, v12
	v_add_f32_e32 v16, v16, v19
	v_mov_b32_e32 v19, v17
	v_add_f32_e32 v15, v15, v18
	v_fma_f32 v17, v12, s17, -v17
	v_mul_f32_e32 v18, 0x3f763a35, v5
	v_add_f32_e32 v14, v14, v100
	v_fmac_f32_e32 v19, 0xbf7ba420, v12
	v_add_f32_e32 v17, v17, v101
	v_fma_f32 v100, v11, s5, -v18
	v_mul_f32_e32 v101, 0x3f763a35, v7
	v_fmac_f32_e32 v18, 0xbe8c1d8e, v11
	v_add_f32_e32 v19, v19, v105
	v_mov_b32_e32 v105, v101
	v_add_f32_e32 v18, v18, v104
	v_fma_f32 v101, v12, s5, -v101
	v_mul_f32_e32 v104, 0x3eb8f4ab, v5
	v_add_f32_e32 v100, v100, v106
	v_fmac_f32_e32 v105, 0xbe8c1d8e, v12
	v_add_f32_e32 v101, v101, v107
	v_fma_f32 v106, v11, s16, -v104
	v_mul_f32_e32 v107, 0x3eb8f4ab, v7
	;; [unrolled: 11-line block ×5, first 2 shown]
	v_fmac_f32_e32 v116, 0xbf1a4643, v11
	v_mul_f32_e32 v5, 0x3f2c7751, v5
	v_mul_f32_e32 v7, 0x3f2c7751, v7
	v_add_f32_e32 v117, v117, v121
	v_add_f32_e32 v118, v118, v122
	v_mov_b32_e32 v121, v119
	v_add_f32_e32 v116, v116, v120
	v_fma_f32 v120, v11, s14, -v5
	v_mov_b32_e32 v122, v7
	v_fmac_f32_e32 v5, 0x3f3d2fb0, v11
	v_sub_f32_e32 v11, v195, v196
	v_fmac_f32_e32 v121, 0xbf1a4643, v12
	v_fma_f32 v119, v12, s13, -v119
	v_fmac_f32_e32 v122, 0x3f3d2fb0, v12
	v_add_f32_e32 v5, v5, v9
	v_fma_f32 v7, v12, s14, -v7
	v_add_f32_e32 v9, v197, v4
	v_mul_f32_e32 v12, 0xbf763a35, v11
	v_add_f32_e32 v119, v119, v123
	v_sub_f32_e32 v4, v197, v4
	v_fma_f32 v123, v9, s5, -v12
	v_add_f32_e32 v7, v7, v10
	v_add_f32_e32 v10, v195, v196
	v_add_f32_e32 v8, v123, v8
	v_mul_f32_e32 v123, 0xbf763a35, v4
	v_fmac_f32_e32 v12, 0xbe8c1d8e, v9
	v_add_f32_e32 v127, v127, v131
	v_add_f32_e32 v6, v12, v6
	v_fma_f32 v12, v10, s5, -v123
	v_add_f32_e32 v124, v124, v127
	v_add_f32_e32 v12, v12, v13
	v_mul_f32_e32 v13, 0x3f06c442, v11
	v_add_f32_e32 v120, v120, v124
	v_mov_b32_e32 v124, v123
	v_fma_f32 v123, v9, s15, -v13
	v_add_f32_e32 v16, v123, v16
	v_mul_f32_e32 v123, 0x3f06c442, v4
	v_fmac_f32_e32 v13, 0xbf59a7d5, v9
	v_add_f32_e32 v13, v13, v15
	v_fma_f32 v15, v10, s15, -v123
	v_fmac_f32_e32 v124, 0xbe8c1d8e, v10
	v_add_f32_e32 v15, v15, v17
	v_mul_f32_e32 v17, 0x3f2c7751, v11
	v_add_f32_e32 v14, v124, v14
	v_mov_b32_e32 v124, v123
	v_fma_f32 v123, v9, s14, -v17
	v_add_f32_e32 v100, v123, v100
	v_mul_f32_e32 v123, 0x3f2c7751, v4
	v_fmac_f32_e32 v17, 0x3f3d2fb0, v9
	v_add_f32_e32 v17, v17, v18
	v_fma_f32 v18, v10, s14, -v123
	v_fmac_f32_e32 v124, 0xbf59a7d5, v10
	;; [unrolled: 11-line block ×5, first 2 shown]
	v_add_f32_e32 v112, v112, v115
	v_mul_f32_e32 v115, 0xbeb8f4ab, v11
	v_add_f32_e32 v113, v124, v113
	v_mov_b32_e32 v124, v123
	v_fma_f32 v123, v9, s16, -v115
	v_add_f32_e32 v118, v123, v118
	v_mul_f32_e32 v123, 0xbeb8f4ab, v4
	v_fmac_f32_e32 v115, 0x3f6eb680, v9
	v_add_f32_e32 v115, v115, v116
	v_fma_f32 v116, v10, s16, -v123
	v_mul_f32_e32 v11, 0xbf4c4adb, v11
	v_add_f32_e32 v129, v129, v132
	v_add_f32_e32 v116, v116, v119
	v_fma_f32 v119, v9, s13, -v11
	v_mul_f32_e32 v4, 0xbf4c4adb, v4
	v_add_f32_e32 v126, v126, v129
	v_add_f32_e32 v119, v119, v120
	v_mov_b32_e32 v120, v4
	v_fmac_f32_e32 v11, 0xbf1a4643, v9
	v_add_f32_e32 v122, v122, v126
	v_fmac_f32_e32 v124, 0x3dbcf732, v10
	v_fmac_f32_e32 v120, 0xbf1a4643, v10
	v_add_f32_e32 v5, v11, v5
	v_fma_f32 v4, v10, s13, -v4
	v_sub_f32_e32 v11, v192, v193
	v_add_f32_e32 v117, v124, v117
	v_mov_b32_e32 v124, v123
	v_add_f32_e32 v120, v120, v122
	v_add_f32_e32 v4, v4, v7
	;; [unrolled: 1-line block ×3, first 2 shown]
	v_mul_f32_e32 v122, 0xbf4c4adb, v11
	v_fmac_f32_e32 v124, 0x3f6eb680, v10
	v_sub_f32_e32 v10, v194, v140
	v_fma_f32 v123, v7, s13, -v122
	v_add_f32_e32 v128, v128, v130
	v_add_f32_e32 v9, v192, v193
	;; [unrolled: 1-line block ×3, first 2 shown]
	v_mul_f32_e32 v123, 0xbf4c4adb, v10
	v_fmac_f32_e32 v122, 0xbf1a4643, v7
	v_add_f32_e32 v125, v125, v128
	v_add_f32_e32 v6, v122, v6
	v_fma_f32 v122, v9, s13, -v123
	v_add_f32_e32 v121, v121, v125
	v_add_f32_e32 v12, v122, v12
	v_mul_f32_e32 v122, 0x3f763a35, v11
	v_add_f32_e32 v121, v124, v121
	v_mov_b32_e32 v124, v123
	v_fma_f32 v123, v7, s5, -v122
	v_add_f32_e32 v16, v123, v16
	v_mul_f32_e32 v123, 0x3f763a35, v10
	v_fmac_f32_e32 v122, 0xbe8c1d8e, v7
	v_add_f32_e32 v13, v122, v13
	v_fma_f32 v122, v9, s5, -v123
	v_fmac_f32_e32 v124, 0xbf1a4643, v9
	v_add_f32_e32 v15, v122, v15
	v_mul_f32_e32 v122, 0xbeb8f4ab, v11
	v_add_f32_e32 v14, v124, v14
	v_mov_b32_e32 v124, v123
	v_fma_f32 v123, v7, s16, -v122
	v_add_f32_e32 v100, v123, v100
	v_mul_f32_e32 v123, 0xbeb8f4ab, v10
	v_fmac_f32_e32 v122, 0x3f6eb680, v7
	v_add_f32_e32 v17, v122, v17
	v_fma_f32 v122, v9, s16, -v123
	v_fmac_f32_e32 v124, 0xbe8c1d8e, v9
	;; [unrolled: 11-line block ×5, first 2 shown]
	v_add_f32_e32 v112, v122, v112
	v_mul_f32_e32 v122, 0xbe3c28d5, v11
	v_add_f32_e32 v113, v124, v113
	v_mov_b32_e32 v124, v123
	v_fma_f32 v123, v7, s17, -v122
	v_add_f32_e32 v118, v123, v118
	v_mul_f32_e32 v123, 0xbe3c28d5, v10
	v_fmac_f32_e32 v122, 0xbf7ba420, v7
	v_add_f32_e32 v115, v122, v115
	v_fma_f32 v122, v9, s17, -v123
	v_mul_f32_e32 v11, 0x3f65296c, v11
	v_add_f32_e32 v116, v122, v116
	v_fma_f32 v122, v7, s12, -v11
	v_mul_f32_e32 v10, 0x3f65296c, v10
	v_add_f32_e32 v119, v122, v119
	v_mov_b32_e32 v122, v10
	v_fmac_f32_e32 v11, 0x3ee437d1, v7
	v_fmac_f32_e32 v122, 0x3ee437d1, v9
	v_add_f32_e32 v5, v11, v5
	v_fma_f32 v7, v9, s12, -v10
	v_sub_f32_e32 v11, v188, v189
	v_fmac_f32_e32 v124, 0x3f3d2fb0, v9
	v_add_f32_e32 v120, v122, v120
	v_add_f32_e32 v4, v7, v4
	;; [unrolled: 1-line block ×3, first 2 shown]
	v_mul_f32_e32 v122, 0xbf06c442, v11
	v_add_f32_e32 v117, v124, v117
	v_mov_b32_e32 v124, v123
	v_sub_f32_e32 v10, v190, v191
	v_fma_f32 v123, v7, s15, -v122
	v_fmac_f32_e32 v124, 0xbf7ba420, v9
	v_add_f32_e32 v9, v188, v189
	v_add_f32_e32 v8, v123, v8
	v_mul_f32_e32 v123, 0xbf06c442, v10
	v_fmac_f32_e32 v122, 0xbf59a7d5, v7
	v_add_f32_e32 v6, v122, v6
	v_fma_f32 v122, v9, s15, -v123
	v_add_f32_e32 v12, v122, v12
	v_mul_f32_e32 v122, 0x3f65296c, v11
	v_add_f32_e32 v121, v124, v121
	v_mov_b32_e32 v124, v123
	v_fma_f32 v123, v7, s12, -v122
	v_add_f32_e32 v16, v123, v16
	v_mul_f32_e32 v123, 0x3f65296c, v10
	v_fmac_f32_e32 v122, 0x3ee437d1, v7
	v_add_f32_e32 v13, v122, v13
	v_fma_f32 v122, v9, s12, -v123
	v_fmac_f32_e32 v124, 0xbf59a7d5, v9
	v_add_f32_e32 v15, v122, v15
	v_mul_f32_e32 v122, 0xbf7ee86f, v11
	v_add_f32_e32 v14, v124, v14
	v_mov_b32_e32 v124, v123
	v_fma_f32 v123, v7, s4, -v122
	v_fmac_f32_e32 v124, 0x3ee437d1, v9
	v_add_f32_e32 v123, v123, v100
	v_mul_f32_e32 v100, 0xbf7ee86f, v10
	v_add_f32_e32 v19, v124, v19
	v_mov_b32_e32 v124, v100
	v_fma_f32 v100, v9, s4, -v100
	v_fmac_f32_e32 v124, 0x3dbcf732, v9
	v_add_f32_e32 v18, v100, v18
	v_mul_f32_e32 v100, 0x3f4c4adb, v11
	v_add_f32_e32 v124, v124, v105
	v_fmac_f32_e32 v122, 0x3dbcf732, v7
	v_fma_f32 v105, v7, s13, -v100
	v_add_f32_e32 v17, v122, v17
	v_add_f32_e32 v122, v105, v106
	v_mul_f32_e32 v105, 0x3f4c4adb, v10
	v_fmac_f32_e32 v100, 0xbf1a4643, v7
	v_add_f32_e32 v126, v100, v101
	v_fma_f32 v100, v9, s13, -v105
	v_add_f32_e32 v127, v100, v104
	v_mul_f32_e32 v100, 0xbeb8f4ab, v11
	v_fma_f32 v101, v7, s16, -v100
	v_add_f32_e32 v128, v101, v110
	v_mul_f32_e32 v101, 0xbeb8f4ab, v10
	v_fmac_f32_e32 v100, 0x3f6eb680, v7
	v_add_f32_e32 v130, v100, v107
	v_fma_f32 v100, v9, s16, -v101
	v_add_f32_e32 v131, v100, v108
	v_mul_f32_e32 v100, 0xbe3c28d5, v11
	v_mov_b32_e32 v104, v101
	v_fma_f32 v101, v7, s17, -v100
	v_add_f32_e32 v132, v101, v114
	v_mul_f32_e32 v101, 0xbe3c28d5, v10
	v_fmac_f32_e32 v100, 0xbf7ba420, v7
	v_add_f32_e32 v134, v100, v111
	v_fma_f32 v100, v9, s17, -v101
	v_fmac_f32_e32 v104, 0x3f6eb680, v9
	v_add_f32_e32 v135, v100, v112
	v_mul_f32_e32 v100, 0x3f2c7751, v11
	v_add_f32_e32 v129, v104, v113
	v_mov_b32_e32 v104, v101
	v_fma_f32 v101, v7, s14, -v100
	v_add_f32_e32 v140, v101, v118
	v_mul_f32_e32 v101, 0x3f2c7751, v10
	v_fmac_f32_e32 v100, 0x3f3d2fb0, v7
	v_add_f32_e32 v141, v100, v115
	v_fma_f32 v100, v9, s14, -v101
	v_mul_f32_e32 v11, 0xbf763a35, v11
	v_add_f32_e32 v142, v100, v116
	v_fma_f32 v100, v7, s5, -v11
	v_mul_f32_e32 v10, 0xbf763a35, v10
	v_add_f32_e32 v143, v100, v119
	v_mov_b32_e32 v100, v10
	v_fmac_f32_e32 v11, 0xbe8c1d8e, v7
	v_fmac_f32_e32 v100, 0xbe8c1d8e, v9
	v_add_f32_e32 v5, v11, v5
	v_fma_f32 v7, v9, s5, -v10
	v_sub_f32_e32 v11, v182, v183
	v_fmac_f32_e32 v104, 0xbf7ba420, v9
	v_add_f32_e32 v120, v100, v120
	v_add_f32_e32 v4, v7, v4
	;; [unrolled: 1-line block ×3, first 2 shown]
	v_mul_f32_e32 v100, 0xbe3c28d5, v11
	v_add_f32_e32 v133, v104, v117
	v_mov_b32_e32 v104, v101
	v_sub_f32_e32 v10, v184, v185
	v_fma_f32 v101, v7, s17, -v100
	v_mov_b32_e32 v106, v105
	v_add_f32_e32 v108, v101, v8
	v_mul_f32_e32 v8, 0xbe3c28d5, v10
	v_fmac_f32_e32 v106, 0xbf1a4643, v9
	v_fmac_f32_e32 v104, 0x3f3d2fb0, v9
	v_add_f32_e32 v9, v182, v183
	v_mov_b32_e32 v101, v8
	v_fmac_f32_e32 v100, 0xbf7ba420, v7
	v_fmac_f32_e32 v101, 0xbf7ba420, v9
	v_add_f32_e32 v100, v100, v6
	v_fma_f32 v6, v9, s17, -v8
	v_add_f32_e32 v125, v106, v109
	v_add_f32_e32 v109, v101, v14
	;; [unrolled: 1-line block ×3, first 2 shown]
	v_mul_f32_e32 v6, 0x3eb8f4ab, v11
	v_fma_f32 v8, v7, s16, -v6
	v_add_f32_e32 v110, v8, v16
	v_mul_f32_e32 v8, 0x3eb8f4ab, v10
	v_fmac_f32_e32 v6, 0x3f6eb680, v7
	v_add_f32_e32 v121, v104, v121
	v_add_f32_e32 v104, v6, v13
	v_fma_f32 v6, v9, s16, -v8
	v_add_f32_e32 v105, v6, v15
	v_mul_f32_e32 v6, 0xbf06c442, v11
	v_mov_b32_e32 v12, v8
	v_fma_f32 v8, v7, s15, -v6
	v_add_f32_e32 v114, v8, v123
	v_mul_f32_e32 v8, 0xbf06c442, v10
	v_fmac_f32_e32 v6, 0xbf59a7d5, v7
	v_add_f32_e32 v106, v6, v17
	v_fma_f32 v6, v9, s15, -v8
	v_fmac_f32_e32 v12, 0x3f6eb680, v9
	v_add_f32_e32 v107, v6, v18
	v_mul_f32_e32 v6, 0x3f2c7751, v11
	v_add_f32_e32 v111, v12, v19
	v_mov_b32_e32 v12, v8
	v_fma_f32 v8, v7, s14, -v6
	v_add_f32_e32 v118, v8, v122
	v_mul_f32_e32 v8, 0x3f2c7751, v10
	v_fmac_f32_e32 v6, 0x3f3d2fb0, v7
	v_add_f32_e32 v112, v6, v126
	v_fma_f32 v6, v9, s14, -v8
	v_fmac_f32_e32 v12, 0xbf59a7d5, v9
	v_add_f32_e32 v113, v6, v127
	v_mul_f32_e32 v6, 0xbf4c4adb, v11
	v_add_f32_e32 v115, v12, v124
	;; [unrolled: 11-line block ×5, first 2 shown]
	v_mov_b32_e32 v12, v8
	v_fma_f32 v8, v7, s4, -v6
	v_add_f32_e32 v134, v8, v143
	v_mul_f32_e32 v8, 0x3f7ee86f, v10
	v_fmac_f32_e32 v6, 0x3dbcf732, v7
	v_add_f32_e32 v140, v6, v5
	v_fma_f32 v5, v9, s4, -v8
	v_add_f32_e32 v141, v5, v4
	v_add_f32_e32 v5, v103, v181
	;; [unrolled: 1-line block ×24, first 2 shown]
	v_mov_b32_e32 v10, v8
	v_add_f32_e32 v4, v4, v151
	v_add_f32_e32 v5, v5, v154
	v_fmac_f32_e32 v10, 0x3dbcf732, v9
	v_add_f32_e32 v4, v4, v139
	v_add_f32_e32 v5, v5, v158
	v_sub_f32_e32 v6, v180, v186
	v_add_f32_e32 v135, v10, v120
	v_add_f32_e32 v4, v4, v155
	;; [unrolled: 1-line block ×3, first 2 shown]
	v_mul_f32_e32 v10, 0xbeb8f4ab, v6
	v_mul_f32_e32 v14, 0xbf2c7751, v6
	v_mul_f32_e32 v18, 0xbf65296c, v6
	v_mul_f32_e32 v122, 0xbf7ee86f, v6
	v_mul_f32_e32 v162, 0xbf763a35, v6
	v_mul_f32_e32 v166, 0xbf4c4adb, v6
	v_mul_f32_e32 v170, 0xbf06c442, v6
	v_mul_f32_e32 v6, 0xbe3c28d5, v6
	v_fmac_f32_e32 v12, 0xbe8c1d8e, v9
	v_add_f32_e32 v4, v4, v159
	v_add_f32_e32 v143, v5, v187
	;; [unrolled: 1-line block ×3, first 2 shown]
	v_sub_f32_e32 v7, v181, v187
	v_mov_b32_e32 v11, v10
	v_mov_b32_e32 v15, v14
	v_mov_b32_e32 v19, v18
	v_mov_b32_e32 v123, v122
	v_mov_b32_e32 v163, v162
	v_mov_b32_e32 v167, v166
	v_mov_b32_e32 v171, v170
	v_mov_b32_e32 v177, v6
	v_add_f32_e32 v133, v12, v121
	v_add_f32_e32 v142, v4, v186
	;; [unrolled: 1-line block ×3, first 2 shown]
	v_mul_f32_e32 v8, 0xbeb8f4ab, v7
	v_fmac_f32_e32 v11, 0x3f6eb680, v5
	v_fma_f32 v10, v5, s16, -v10
	v_mul_f32_e32 v12, 0xbf2c7751, v7
	v_fmac_f32_e32 v15, 0x3f3d2fb0, v5
	v_fma_f32 v14, v5, s14, -v14
	;; [unrolled: 3-line block ×8, first 2 shown]
	v_fma_f32 v9, v4, s16, -v8
	v_add_f32_e32 v11, v103, v11
	v_fmac_f32_e32 v8, 0x3f6eb680, v4
	v_add_f32_e32 v10, v103, v10
	v_fma_f32 v13, v4, s14, -v12
	v_add_f32_e32 v15, v103, v15
	v_fmac_f32_e32 v12, 0x3f3d2fb0, v4
	v_add_f32_e32 v14, v103, v14
	;; [unrolled: 4-line block ×8, first 2 shown]
	v_sub_f32_e32 v103, v179, v175
	v_add_f32_e32 v9, v102, v9
	v_add_f32_e32 v8, v102, v8
	;; [unrolled: 1-line block ×17, first 2 shown]
	v_sub_f32_e32 v102, v178, v159
	v_mul_f32_e32 v159, 0xbf2c7751, v103
	v_add_f32_e32 v7, v179, v175
	v_fma_f32 v175, v6, s14, -v159
	v_add_f32_e32 v9, v175, v9
	v_mul_f32_e32 v175, 0xbf2c7751, v102
	v_fmac_f32_e32 v159, 0x3f3d2fb0, v6
	v_add_f32_e32 v8, v159, v8
	v_fma_f32 v159, v7, s14, -v175
	v_add_f32_e32 v10, v159, v10
	v_mul_f32_e32 v159, 0xbf7ee86f, v103
	v_mov_b32_e32 v178, v175
	v_fma_f32 v175, v6, s4, -v159
	v_add_f32_e32 v13, v175, v13
	v_mul_f32_e32 v175, 0xbf7ee86f, v102
	v_fmac_f32_e32 v159, 0x3dbcf732, v6
	v_add_f32_e32 v12, v159, v12
	v_fma_f32 v159, v7, s4, -v175
	v_fmac_f32_e32 v178, 0x3f3d2fb0, v7
	v_add_f32_e32 v14, v159, v14
	v_mul_f32_e32 v159, 0xbf4c4adb, v103
	v_add_f32_e32 v11, v178, v11
	v_mov_b32_e32 v178, v175
	v_fma_f32 v175, v6, s13, -v159
	v_add_f32_e32 v17, v175, v17
	v_mul_f32_e32 v175, 0xbf4c4adb, v102
	v_fmac_f32_e32 v159, 0xbf1a4643, v6
	v_add_f32_e32 v16, v159, v16
	v_fma_f32 v159, v7, s13, -v175
	v_fmac_f32_e32 v178, 0x3dbcf732, v7
	v_add_f32_e32 v18, v159, v18
	v_mul_f32_e32 v159, 0xbe3c28d5, v103
	v_add_f32_e32 v15, v178, v15
	;; [unrolled: 11-line block ×5, first 2 shown]
	v_mov_b32_e32 v178, v175
	v_fma_f32 v175, v6, s12, -v166
	v_add_f32_e32 v169, v175, v169
	v_mul_f32_e32 v175, 0x3f65296c, v102
	v_fmac_f32_e32 v166, 0x3ee437d1, v6
	v_add_f32_e32 v166, v166, v168
	v_fma_f32 v168, v7, s12, -v175
	v_mul_f32_e32 v103, 0x3eb8f4ab, v103
	v_add_f32_e32 v168, v168, v170
	v_fma_f32 v170, v6, s16, -v103
	v_mul_f32_e32 v102, 0x3eb8f4ab, v102
	v_fmac_f32_e32 v103, 0x3f6eb680, v6
	v_fmac_f32_e32 v178, 0xbe8c1d8e, v7
	v_add_f32_e32 v4, v103, v4
	v_fma_f32 v6, v7, s16, -v102
	v_sub_f32_e32 v103, v174, v158
	v_add_f32_e32 v167, v178, v167
	v_mov_b32_e32 v178, v175
	v_mov_b32_e32 v175, v102
	v_add_f32_e32 v5, v6, v5
	v_add_f32_e32 v6, v173, v155
	v_sub_f32_e32 v102, v173, v155
	v_mul_f32_e32 v155, 0xbf65296c, v103
	v_fmac_f32_e32 v178, 0x3ee437d1, v7
	v_fmac_f32_e32 v175, 0x3f6eb680, v7
	v_add_f32_e32 v7, v174, v158
	v_fma_f32 v158, v6, s12, -v155
	v_add_f32_e32 v9, v158, v9
	v_mul_f32_e32 v158, 0xbf65296c, v102
	v_fmac_f32_e32 v155, 0x3ee437d1, v6
	v_add_f32_e32 v8, v155, v8
	v_fma_f32 v155, v7, s12, -v158
	v_add_f32_e32 v10, v155, v10
	v_mul_f32_e32 v155, 0xbf4c4adb, v103
	v_mov_b32_e32 v173, v158
	v_fma_f32 v158, v6, s13, -v155
	v_add_f32_e32 v13, v158, v13
	v_mul_f32_e32 v158, 0xbf4c4adb, v102
	v_fmac_f32_e32 v155, 0xbf1a4643, v6
	v_add_f32_e32 v12, v155, v12
	v_fma_f32 v155, v7, s13, -v158
	v_fmac_f32_e32 v173, 0x3ee437d1, v7
	v_add_f32_e32 v14, v155, v14
	v_mul_f32_e32 v155, 0x3e3c28d5, v103
	v_add_f32_e32 v11, v173, v11
	v_mov_b32_e32 v173, v158
	v_fma_f32 v158, v6, s17, -v155
	v_add_f32_e32 v17, v158, v17
	v_mul_f32_e32 v158, 0x3e3c28d5, v102
	v_fmac_f32_e32 v155, 0xbf7ba420, v6
	v_add_f32_e32 v16, v155, v16
	v_fma_f32 v155, v7, s17, -v158
	v_fmac_f32_e32 v173, 0xbf1a4643, v7
	v_add_f32_e32 v18, v155, v18
	v_mul_f32_e32 v155, 0x3f763a35, v103
	v_add_f32_e32 v15, v173, v15
	;; [unrolled: 11-line block ×5, first 2 shown]
	v_mov_b32_e32 v173, v165
	v_fma_f32 v165, v6, s4, -v164
	v_add_f32_e32 v165, v165, v169
	v_mul_f32_e32 v169, 0xbf7ee86f, v102
	v_fmac_f32_e32 v164, 0x3dbcf732, v6
	v_add_f32_e32 v164, v164, v166
	v_fma_f32 v166, v7, s4, -v169
	v_mul_f32_e32 v103, 0xbf06c442, v103
	v_add_f32_e32 v166, v166, v168
	v_fma_f32 v168, v6, s15, -v103
	v_mul_f32_e32 v102, 0xbf06c442, v102
	v_fmac_f32_e32 v103, 0xbf59a7d5, v6
	v_fmac_f32_e32 v173, 0x3f6eb680, v7
	v_add_f32_e32 v4, v103, v4
	v_fma_f32 v6, v7, s15, -v102
	v_sub_f32_e32 v103, v172, v154
	v_add_f32_e32 v167, v173, v167
	v_mov_b32_e32 v173, v169
	v_mov_b32_e32 v169, v102
	v_add_f32_e32 v5, v6, v5
	v_add_f32_e32 v6, v157, v139
	v_sub_f32_e32 v102, v157, v139
	v_mul_f32_e32 v139, 0xbf7ee86f, v103
	v_fmac_f32_e32 v173, 0x3dbcf732, v7
	v_fmac_f32_e32 v169, 0xbf59a7d5, v7
	v_add_f32_e32 v7, v172, v154
	v_fma_f32 v154, v6, s4, -v139
	v_add_f32_e32 v9, v154, v9
	v_mul_f32_e32 v154, 0xbf7ee86f, v102
	v_fmac_f32_e32 v139, 0x3dbcf732, v6
	v_add_f32_e32 v8, v139, v8
	v_fma_f32 v139, v7, s4, -v154
	v_add_f32_e32 v10, v139, v10
	v_mul_f32_e32 v139, 0xbe3c28d5, v103
	v_mov_b32_e32 v157, v154
	v_fma_f32 v154, v6, s17, -v139
	v_add_f32_e32 v13, v154, v13
	v_mul_f32_e32 v154, 0xbe3c28d5, v102
	v_fmac_f32_e32 v139, 0xbf7ba420, v6
	v_add_f32_e32 v12, v139, v12
	v_fma_f32 v139, v7, s17, -v154
	v_fmac_f32_e32 v157, 0x3dbcf732, v7
	v_add_f32_e32 v14, v139, v14
	v_mul_f32_e32 v139, 0x3f763a35, v103
	v_add_f32_e32 v11, v157, v11
	v_mov_b32_e32 v157, v154
	v_fma_f32 v154, v6, s5, -v139
	v_add_f32_e32 v17, v154, v17
	v_mul_f32_e32 v154, 0x3f763a35, v102
	v_fmac_f32_e32 v139, 0xbe8c1d8e, v6
	v_add_f32_e32 v16, v139, v16
	v_fma_f32 v139, v7, s5, -v154
	v_fmac_f32_e32 v157, 0xbf7ba420, v7
	v_add_f32_e32 v18, v139, v18
	v_mul_f32_e32 v139, 0x3eb8f4ab, v103
	v_add_f32_e32 v15, v157, v15
	v_mov_b32_e32 v157, v154
	v_fma_f32 v154, v6, s16, -v139
	v_fmac_f32_e32 v157, 0xbe8c1d8e, v7
	v_add_f32_e32 v121, v154, v121
	v_mul_f32_e32 v154, 0x3eb8f4ab, v102
	v_fmac_f32_e32 v139, 0x3f6eb680, v6
	v_add_f32_e32 v19, v157, v19
	v_mov_b32_e32 v157, v154
	v_add_f32_e32 v120, v139, v120
	v_fma_f32 v139, v7, s16, -v154
	v_fmac_f32_e32 v157, 0x3f6eb680, v7
	v_add_f32_e32 v122, v139, v122
	v_mul_f32_e32 v139, 0xbf65296c, v103
	v_add_f32_e32 v123, v157, v123
	v_fma_f32 v154, v6, s12, -v139
	v_mul_f32_e32 v157, 0xbf65296c, v102
	v_fmac_f32_e32 v139, 0x3ee437d1, v6
	v_add_f32_e32 v154, v154, v158
	v_mov_b32_e32 v158, v157
	v_add_f32_e32 v139, v139, v155
	v_fma_f32 v155, v7, s12, -v157
	v_mul_f32_e32 v157, 0xbf06c442, v103
	v_add_f32_e32 v155, v155, v159
	v_fma_f32 v159, v6, s15, -v157
	v_fmac_f32_e32 v158, 0x3ee437d1, v7
	v_add_f32_e32 v159, v159, v161
	v_mul_f32_e32 v161, 0xbf06c442, v102
	v_fmac_f32_e32 v157, 0xbf59a7d5, v6
	v_add_f32_e32 v158, v158, v163
	v_mov_b32_e32 v163, v161
	v_add_f32_e32 v157, v157, v160
	v_fma_f32 v160, v7, s15, -v161
	v_mul_f32_e32 v161, 0x3f4c4adb, v103
	v_add_f32_e32 v160, v160, v162
	v_fma_f32 v162, v6, s13, -v161
	v_fmac_f32_e32 v163, 0xbf59a7d5, v7
	v_add_f32_e32 v162, v162, v165
	v_mul_f32_e32 v165, 0x3f4c4adb, v102
	v_fmac_f32_e32 v161, 0xbf1a4643, v6
	v_mul_f32_e32 v103, 0x3f2c7751, v103
	v_add_f32_e32 v163, v163, v167
	v_mov_b32_e32 v167, v165
	v_add_f32_e32 v161, v161, v164
	v_fma_f32 v164, v7, s13, -v165
	v_fma_f32 v165, v6, s14, -v103
	v_mul_f32_e32 v102, 0x3f2c7751, v102
	v_fmac_f32_e32 v103, 0x3f3d2fb0, v6
	v_add_f32_e32 v164, v164, v166
	v_mov_b32_e32 v166, v102
	v_add_f32_e32 v4, v103, v4
	v_fma_f32 v6, v7, s14, -v102
	v_sub_f32_e32 v103, v156, v138
	v_fmac_f32_e32 v167, 0xbf1a4643, v7
	v_fmac_f32_e32 v166, 0x3f3d2fb0, v7
	v_add_f32_e32 v5, v6, v5
	v_add_f32_e32 v6, v153, v151
	;; [unrolled: 1-line block ×3, first 2 shown]
	v_mul_f32_e32 v138, 0xbf763a35, v103
	v_sub_f32_e32 v102, v153, v151
	v_fma_f32 v151, v6, s5, -v138
	v_add_f32_e32 v9, v151, v9
	v_mul_f32_e32 v151, 0xbf763a35, v102
	v_fmac_f32_e32 v138, 0xbe8c1d8e, v6
	v_add_f32_e32 v8, v138, v8
	v_fma_f32 v138, v7, s5, -v151
	v_add_f32_e32 v10, v138, v10
	v_mul_f32_e32 v138, 0x3f06c442, v103
	v_mov_b32_e32 v153, v151
	v_fma_f32 v151, v6, s15, -v138
	v_add_f32_e32 v13, v151, v13
	v_mul_f32_e32 v151, 0x3f06c442, v102
	v_fmac_f32_e32 v138, 0xbf59a7d5, v6
	v_add_f32_e32 v12, v138, v12
	v_fma_f32 v138, v7, s15, -v151
	v_fmac_f32_e32 v153, 0xbe8c1d8e, v7
	v_add_f32_e32 v14, v138, v14
	v_mul_f32_e32 v138, 0x3f2c7751, v103
	v_add_f32_e32 v11, v153, v11
	v_mov_b32_e32 v153, v151
	v_fma_f32 v151, v6, s14, -v138
	v_add_f32_e32 v17, v151, v17
	v_mul_f32_e32 v151, 0x3f2c7751, v102
	v_fmac_f32_e32 v138, 0x3f3d2fb0, v6
	v_add_f32_e32 v16, v138, v16
	v_fma_f32 v138, v7, s14, -v151
	v_fmac_f32_e32 v153, 0xbf59a7d5, v7
	v_add_f32_e32 v18, v138, v18
	v_mul_f32_e32 v138, 0xbf65296c, v103
	v_add_f32_e32 v15, v153, v15
	v_mov_b32_e32 v153, v151
	v_fma_f32 v151, v6, s12, -v138
	v_fmac_f32_e32 v153, 0x3f3d2fb0, v7
	v_add_f32_e32 v121, v151, v121
	v_mul_f32_e32 v151, 0xbf65296c, v102
	v_fmac_f32_e32 v138, 0x3ee437d1, v6
	v_add_f32_e32 v19, v153, v19
	v_mov_b32_e32 v153, v151
	v_add_f32_e32 v120, v138, v120
	v_fma_f32 v138, v7, s12, -v151
	v_fmac_f32_e32 v153, 0x3ee437d1, v7
	v_add_f32_e32 v122, v138, v122
	v_mul_f32_e32 v138, 0xbe3c28d5, v103
	v_add_f32_e32 v123, v153, v123
	v_fma_f32 v151, v6, s17, -v138
	v_mul_f32_e32 v153, 0xbe3c28d5, v102
	v_fmac_f32_e32 v138, 0xbf7ba420, v6
	v_add_f32_e32 v151, v151, v154
	v_mov_b32_e32 v154, v153
	v_add_f32_e32 v138, v138, v139
	v_fma_f32 v139, v7, s17, -v153
	v_mul_f32_e32 v153, 0x3f7ee86f, v103
	v_add_f32_e32 v139, v139, v155
	v_fma_f32 v155, v6, s4, -v153
	v_fmac_f32_e32 v153, 0x3dbcf732, v6
	v_fmac_f32_e32 v154, 0xbf7ba420, v7
	v_mul_f32_e32 v156, 0x3f7ee86f, v102
	v_add_f32_e32 v153, v153, v157
	v_mul_f32_e32 v157, 0xbeb8f4ab, v103
	v_add_f32_e32 v154, v154, v158
	v_add_f32_e32 v155, v155, v159
	v_mov_b32_e32 v158, v156
	v_fma_f32 v156, v7, s4, -v156
	v_fma_f32 v159, v6, s16, -v157
	v_fmac_f32_e32 v157, 0x3f6eb680, v6
	v_mul_f32_e32 v103, 0xbf4c4adb, v103
	v_add_f32_e32 v156, v156, v160
	v_mul_f32_e32 v160, 0xbeb8f4ab, v102
	v_add_f32_e32 v157, v157, v161
	v_fma_f32 v161, v6, s13, -v103
	v_mul_f32_e32 v102, 0xbf4c4adb, v102
	v_fmac_f32_e32 v103, 0xbf1a4643, v6
	v_fmac_f32_e32 v158, 0x3dbcf732, v7
	v_add_f32_e32 v4, v103, v4
	v_fma_f32 v6, v7, s13, -v102
	v_sub_f32_e32 v103, v152, v150
	v_add_f32_e32 v158, v158, v163
	v_mov_b32_e32 v163, v102
	v_add_f32_e32 v5, v6, v5
	v_add_f32_e32 v6, v149, v147
	v_sub_f32_e32 v102, v149, v147
	v_mul_f32_e32 v147, 0xbf4c4adb, v103
	v_add_f32_e32 v159, v159, v162
	v_mov_b32_e32 v162, v160
	v_fma_f32 v149, v6, s13, -v147
	v_fmac_f32_e32 v162, 0x3f6eb680, v7
	v_fma_f32 v160, v7, s16, -v160
	v_fmac_f32_e32 v163, 0xbf1a4643, v7
	v_add_f32_e32 v7, v152, v150
	v_add_f32_e32 v9, v149, v9
	v_mul_f32_e32 v149, 0xbf4c4adb, v102
	v_fmac_f32_e32 v147, 0xbf1a4643, v6
	v_add_f32_e32 v8, v147, v8
	v_fma_f32 v147, v7, s13, -v149
	v_add_f32_e32 v10, v147, v10
	v_mul_f32_e32 v147, 0x3f763a35, v103
	v_mov_b32_e32 v150, v149
	v_fma_f32 v149, v6, s5, -v147
	v_add_f32_e32 v13, v149, v13
	v_mul_f32_e32 v149, 0x3f763a35, v102
	v_fmac_f32_e32 v147, 0xbe8c1d8e, v6
	v_add_f32_e32 v12, v147, v12
	v_fma_f32 v147, v7, s5, -v149
	v_fmac_f32_e32 v150, 0xbf1a4643, v7
	v_add_f32_e32 v14, v147, v14
	v_mul_f32_e32 v147, 0xbeb8f4ab, v103
	v_add_f32_e32 v11, v150, v11
	v_mov_b32_e32 v150, v149
	v_fma_f32 v149, v6, s16, -v147
	v_add_f32_e32 v17, v149, v17
	v_mul_f32_e32 v149, 0xbeb8f4ab, v102
	v_fmac_f32_e32 v147, 0x3f6eb680, v6
	v_add_f32_e32 v16, v147, v16
	v_fma_f32 v147, v7, s16, -v149
	v_fmac_f32_e32 v150, 0xbe8c1d8e, v7
	v_add_f32_e32 v18, v147, v18
	v_mul_f32_e32 v147, 0xbf06c442, v103
	v_add_f32_e32 v15, v150, v15
	v_mov_b32_e32 v150, v149
	v_fma_f32 v149, v6, s15, -v147
	v_fmac_f32_e32 v150, 0x3f6eb680, v7
	v_add_f32_e32 v121, v149, v121
	v_mul_f32_e32 v149, 0xbf06c442, v102
	v_fmac_f32_e32 v147, 0xbf59a7d5, v6
	v_add_f32_e32 v19, v150, v19
	v_mov_b32_e32 v150, v149
	v_add_f32_e32 v120, v147, v120
	v_fma_f32 v147, v7, s15, -v149
	v_fmac_f32_e32 v150, 0xbf59a7d5, v7
	v_add_f32_e32 v122, v147, v122
	v_mul_f32_e32 v147, 0x3f7ee86f, v103
	v_add_f32_e32 v123, v150, v123
	v_fma_f32 v149, v6, s4, -v147
	v_mul_f32_e32 v150, 0x3f7ee86f, v102
	v_fmac_f32_e32 v147, 0x3dbcf732, v6
	v_add_f32_e32 v138, v147, v138
	v_fma_f32 v147, v7, s4, -v150
	v_add_f32_e32 v139, v147, v139
	v_mul_f32_e32 v147, 0xbf2c7751, v103
	v_add_f32_e32 v149, v149, v151
	v_mov_b32_e32 v151, v150
	v_fma_f32 v150, v6, s14, -v147
	v_fmac_f32_e32 v147, 0x3f3d2fb0, v6
	v_fmac_f32_e32 v151, 0x3dbcf732, v7
	v_mul_f32_e32 v152, 0xbf2c7751, v102
	v_add_f32_e32 v147, v147, v153
	v_mul_f32_e32 v153, 0xbe3c28d5, v103
	v_add_f32_e32 v151, v151, v154
	v_add_f32_e32 v150, v150, v155
	v_mov_b32_e32 v154, v152
	v_fma_f32 v152, v7, s14, -v152
	v_fma_f32 v155, v6, s17, -v153
	v_fmac_f32_e32 v153, 0xbf7ba420, v6
	v_mul_f32_e32 v103, 0x3f65296c, v103
	v_add_f32_e32 v152, v152, v156
	v_mul_f32_e32 v156, 0xbe3c28d5, v102
	v_add_f32_e32 v153, v153, v157
	v_fma_f32 v157, v6, s12, -v103
	v_mul_f32_e32 v102, 0x3f65296c, v102
	v_fmac_f32_e32 v103, 0x3ee437d1, v6
	v_fmac_f32_e32 v154, 0x3f3d2fb0, v7
	v_add_f32_e32 v4, v103, v4
	v_fma_f32 v6, v7, s12, -v102
	v_sub_f32_e32 v103, v145, v146
	v_add_f32_e32 v154, v154, v158
	v_add_f32_e32 v155, v155, v159
	v_mov_b32_e32 v158, v156
	v_mov_b32_e32 v159, v102
	v_add_f32_e32 v5, v6, v5
	v_add_f32_e32 v6, v144, v148
	v_sub_f32_e32 v102, v144, v148
	v_mul_f32_e32 v144, 0xbf06c442, v103
	v_fmac_f32_e32 v158, 0xbf7ba420, v7
	v_fma_f32 v156, v7, s17, -v156
	v_fmac_f32_e32 v159, 0x3ee437d1, v7
	v_add_f32_e32 v7, v145, v146
	v_fma_f32 v145, v6, s15, -v144
	v_add_f32_e32 v9, v145, v9
	v_mul_f32_e32 v145, 0xbf06c442, v102
	v_fmac_f32_e32 v144, 0xbf59a7d5, v6
	v_add_f32_e32 v8, v144, v8
	v_fma_f32 v144, v7, s15, -v145
	v_add_f32_e32 v10, v144, v10
	v_mul_f32_e32 v144, 0x3f65296c, v103
	v_mov_b32_e32 v146, v145
	v_fma_f32 v145, v6, s12, -v144
	v_add_f32_e32 v13, v145, v13
	v_mul_f32_e32 v145, 0x3f65296c, v102
	v_fmac_f32_e32 v144, 0x3ee437d1, v6
	v_add_f32_e32 v12, v144, v12
	v_fma_f32 v144, v7, s12, -v145
	v_fmac_f32_e32 v146, 0xbf59a7d5, v7
	v_add_f32_e32 v14, v144, v14
	v_mul_f32_e32 v144, 0xbf7ee86f, v103
	v_add_f32_e32 v11, v146, v11
	v_mov_b32_e32 v146, v145
	v_fma_f32 v145, v6, s4, -v144
	v_add_f32_e32 v17, v145, v17
	v_mul_f32_e32 v145, 0xbf7ee86f, v102
	v_fmac_f32_e32 v144, 0x3dbcf732, v6
	v_add_f32_e32 v16, v144, v16
	v_fma_f32 v144, v7, s4, -v145
	v_fmac_f32_e32 v146, 0x3ee437d1, v7
	v_add_f32_e32 v18, v144, v18
	v_mul_f32_e32 v144, 0x3f4c4adb, v103
	v_add_f32_e32 v15, v146, v15
	v_mov_b32_e32 v146, v145
	v_fma_f32 v145, v6, s13, -v144
	v_fmac_f32_e32 v146, 0x3dbcf732, v7
	v_add_f32_e32 v121, v145, v121
	v_mul_f32_e32 v145, 0x3f4c4adb, v102
	v_add_f32_e32 v19, v146, v19
	v_mov_b32_e32 v146, v145
	v_fmac_f32_e32 v144, 0xbf1a4643, v6
	v_fmac_f32_e32 v146, 0xbf1a4643, v7
	v_add_f32_e32 v120, v144, v120
	v_fma_f32 v144, v7, s13, -v145
	v_add_f32_e32 v123, v146, v123
	v_add_f32_e32 v122, v144, v122
	v_mul_f32_e32 v144, 0xbeb8f4ab, v103
	v_mul_f32_e32 v146, 0xbeb8f4ab, v102
	v_fma_f32 v145, v6, s16, -v144
	v_mov_b32_e32 v148, v146
	v_fmac_f32_e32 v144, 0x3f6eb680, v6
	v_add_f32_e32 v160, v160, v164
	v_fmac_f32_e32 v148, 0x3f6eb680, v7
	v_add_f32_e32 v138, v144, v138
	v_fma_f32 v144, v7, s16, -v146
	v_add_f32_e32 v156, v156, v160
	v_add_f32_e32 v160, v148, v151
	;; [unrolled: 1-line block ×3, first 2 shown]
	v_mul_f32_e32 v144, 0xbe3c28d5, v103
	v_mul_f32_e32 v148, 0xbe3c28d5, v102
	v_add_f32_e32 v170, v170, v176
	v_add_f32_e32 v145, v145, v149
	v_fma_f32 v146, v6, s17, -v144
	v_mov_b32_e32 v149, v148
	v_fmac_f32_e32 v144, 0xbf7ba420, v6
	v_add_f32_e32 v171, v178, v171
	v_add_f32_e32 v168, v168, v170
	v_fmac_f32_e32 v149, 0xbf7ba420, v7
	v_add_f32_e32 v144, v144, v147
	v_fma_f32 v147, v7, s17, -v148
	v_mul_f32_e32 v148, 0x3f2c7751, v103
	v_add_f32_e32 v171, v173, v171
	v_add_f32_e32 v165, v165, v168
	;; [unrolled: 1-line block ×3, first 2 shown]
	v_fma_f32 v149, v6, s14, -v148
	v_add_f32_e32 v167, v167, v171
	v_add_f32_e32 v161, v161, v165
	;; [unrolled: 1-line block ×3, first 2 shown]
	v_mul_f32_e32 v149, 0x3f2c7751, v102
	v_fmac_f32_e32 v148, 0x3f3d2fb0, v6
	v_add_f32_e32 v175, v175, v177
	v_add_f32_e32 v162, v162, v167
	;; [unrolled: 1-line block ×3, first 2 shown]
	v_fma_f32 v148, v7, s14, -v149
	v_mul_f32_e32 v103, 0xbf763a35, v103
	v_add_f32_e32 v169, v169, v175
	v_add_f32_e32 v157, v157, v161
	;; [unrolled: 1-line block ×3, first 2 shown]
	v_fma_f32 v148, v6, s5, -v103
	v_mul_f32_e32 v102, 0xbf763a35, v102
	v_add_f32_e32 v166, v166, v169
	v_add_f32_e32 v146, v146, v150
	v_mov_b32_e32 v150, v149
	v_add_f32_e32 v169, v148, v157
	v_mov_b32_e32 v148, v102
	v_fmac_f32_e32 v150, 0x3f3d2fb0, v7
	v_fmac_f32_e32 v148, 0xbe8c1d8e, v7
	;; [unrolled: 1-line block ×3, first 2 shown]
	v_fma_f32 v6, v7, s5, -v102
	v_add_f32_e32 v7, v1, v137
	v_sub_f32_e32 v1, v1, v137
	v_add_f32_e32 v5, v6, v5
	v_add_f32_e32 v6, v0, v136
	v_mul_f32_e32 v102, 0xbe3c28d5, v1
	v_add_f32_e32 v4, v103, v4
	v_sub_f32_e32 v0, v0, v136
	v_fma_f32 v103, v6, s17, -v102
	v_add_f32_e32 v147, v147, v152
	v_add_f32_e32 v152, v103, v9
	v_mul_f32_e32 v9, 0xbe3c28d5, v0
	v_mov_b32_e32 v103, v9
	v_fmac_f32_e32 v102, 0xbf7ba420, v6
	v_fmac_f32_e32 v103, 0xbf7ba420, v7
	v_add_f32_e32 v102, v102, v8
	v_fma_f32 v8, v7, s17, -v9
	v_add_f32_e32 v153, v103, v11
	v_add_f32_e32 v103, v8, v10
	v_mul_f32_e32 v8, 0x3eb8f4ab, v1
	v_add_f32_e32 v163, v163, v166
	v_fma_f32 v9, v6, s16, -v8
	v_add_f32_e32 v159, v159, v163
	v_add_f32_e32 v154, v9, v13
	v_mul_f32_e32 v9, 0x3eb8f4ab, v0
	v_fmac_f32_e32 v8, 0x3f6eb680, v6
	v_add_f32_e32 v170, v148, v159
	v_add_f32_e32 v148, v8, v12
	v_fma_f32 v8, v7, s16, -v9
	v_add_f32_e32 v149, v8, v14
	v_mul_f32_e32 v8, 0xbf06c442, v1
	v_add_f32_e32 v158, v158, v162
	v_mov_b32_e32 v10, v9
	v_fma_f32 v9, v6, s15, -v8
	v_add_f32_e32 v166, v150, v158
	v_add_f32_e32 v158, v9, v17
	v_mul_f32_e32 v9, 0xbf06c442, v0
	v_fmac_f32_e32 v8, 0xbf59a7d5, v6
	v_add_f32_e32 v150, v8, v16
	v_fma_f32 v8, v7, s15, -v9
	v_fmac_f32_e32 v10, 0x3f6eb680, v7
	v_add_f32_e32 v151, v8, v18
	v_mul_f32_e32 v8, 0x3f2c7751, v1
	v_add_f32_e32 v155, v10, v15
	v_mov_b32_e32 v10, v9
	v_fma_f32 v9, v6, s14, -v8
	v_add_f32_e32 v162, v9, v121
	v_mul_f32_e32 v9, 0x3f2c7751, v0
	v_fmac_f32_e32 v8, 0x3f3d2fb0, v6
	v_add_f32_e32 v156, v8, v120
	v_fma_f32 v8, v7, s14, -v9
	v_fmac_f32_e32 v10, 0xbf59a7d5, v7
	v_add_f32_e32 v157, v8, v122
	v_mul_f32_e32 v8, 0xbf4c4adb, v1
	v_add_f32_e32 v159, v10, v19
	v_mov_b32_e32 v10, v9
	v_fma_f32 v9, v6, s13, -v8
	v_fmac_f32_e32 v10, 0x3f3d2fb0, v7
	v_add_f32_e32 v184, v9, v145
	v_mul_f32_e32 v9, 0xbf4c4adb, v0
	v_add_f32_e32 v163, v10, v123
	v_mov_b32_e32 v10, v9
	v_fmac_f32_e32 v10, 0xbf1a4643, v7
	v_fmac_f32_e32 v8, 0xbf1a4643, v6
	v_add_f32_e32 v185, v10, v160
	v_add_f32_e32 v160, v8, v138
	v_fma_f32 v8, v7, s13, -v9
	v_add_f32_e32 v161, v8, v139
	v_mul_f32_e32 v8, 0x3f65296c, v1
	v_fma_f32 v9, v6, s12, -v8
	v_add_f32_e32 v188, v9, v146
	v_mul_f32_e32 v9, 0x3f65296c, v0
	v_fmac_f32_e32 v8, 0x3ee437d1, v6
	v_add_f32_e32 v186, v8, v144
	v_fma_f32 v8, v7, s12, -v9
	v_add_f32_e32 v187, v8, v147
	v_mul_f32_e32 v8, 0xbf763a35, v1
	v_mov_b32_e32 v10, v9
	v_fma_f32 v9, v6, s5, -v8
	v_add_f32_e32 v192, v9, v165
	v_mul_f32_e32 v9, 0xbf763a35, v0
	v_fmac_f32_e32 v8, 0xbe8c1d8e, v6
	v_add_f32_e32 v190, v8, v167
	v_fma_f32 v8, v7, s5, -v9
	v_mul_f32_e32 v1, 0x3f7ee86f, v1
	v_add_f32_e32 v191, v8, v168
	v_fma_f32 v8, v6, s4, -v1
	v_mul_f32_e32 v0, 0x3f7ee86f, v0
	v_add_f32_e32 v194, v8, v169
	v_mov_b32_e32 v8, v0
	v_fmac_f32_e32 v1, 0x3dbcf732, v6
	v_fmac_f32_e32 v10, 0x3ee437d1, v7
	;; [unrolled: 1-line block ×3, first 2 shown]
	v_add_f32_e32 v196, v1, v4
	v_fma_f32 v0, v7, s4, -v0
	v_sub_f32_e32 v4, v2, v236
	v_add_f32_e32 v189, v10, v164
	v_mov_b32_e32 v10, v9
	v_add_f32_e32 v195, v8, v170
	v_add_f32_e32 v197, v0, v5
	v_sub_f32_e32 v5, v206, v241
	v_mul_f32_e32 v8, 0xbeb8f4ab, v4
	v_mul_f32_e32 v12, 0xbf2c7751, v4
	;; [unrolled: 1-line block ×8, first 2 shown]
	v_fmac_f32_e32 v10, 0xbe8c1d8e, v7
	v_add_f32_e32 v0, v2, v236
	v_add_f32_e32 v1, v206, v241
	v_mul_f32_e32 v6, 0xbeb8f4ab, v5
	v_mov_b32_e32 v9, v8
	v_mov_b32_e32 v13, v12
	;; [unrolled: 1-line block ×8, first 2 shown]
	v_sub_f32_e32 v169, v208, v240
	v_add_f32_e32 v193, v10, v166
	v_fma_f32 v7, v0, s16, -v6
	v_fmac_f32_e32 v9, 0x3f6eb680, v1
	v_fma_f32 v8, v1, s16, -v8
	v_mul_f32_e32 v10, 0xbf2c7751, v5
	v_fmac_f32_e32 v13, 0x3f3d2fb0, v1
	v_fma_f32 v12, v1, s14, -v12
	v_mul_f32_e32 v14, 0xbf65296c, v5
	v_fmac_f32_e32 v17, 0x3ee437d1, v1
	v_fma_f32 v16, v1, s12, -v16
	v_mul_f32_e32 v18, 0xbf7ee86f, v5
	v_fmac_f32_e32 v121, 0x3dbcf732, v1
	v_fma_f32 v120, v1, s4, -v120
	v_mul_f32_e32 v122, 0xbf763a35, v5
	v_fmac_f32_e32 v137, 0xbe8c1d8e, v1
	v_fma_f32 v136, v1, s5, -v136
	v_mul_f32_e32 v138, 0xbf4c4adb, v5
	v_fmac_f32_e32 v145, 0xbf1a4643, v1
	v_fma_f32 v144, v1, s13, -v144
	v_mul_f32_e32 v146, 0xbf06c442, v5
	v_fmac_f32_e32 v165, 0xbf59a7d5, v1
	v_fma_f32 v164, v1, s15, -v164
	v_mul_f32_e32 v5, 0xbe3c28d5, v5
	v_fmac_f32_e32 v167, 0xbf7ba420, v1
	v_fma_f32 v1, v1, s17, -v4
	v_add_f32_e32 v4, v3, v234
	v_mul_f32_e32 v170, 0xbf2c7751, v169
	v_add_f32_e32 v7, v96, v7
	v_fmac_f32_e32 v6, 0x3f6eb680, v0
	v_fma_f32 v166, v0, s17, -v5
	v_fmac_f32_e32 v5, 0xbf7ba420, v0
	v_sub_f32_e32 v168, v3, v234
	v_fma_f32 v171, v4, s14, -v170
	v_add_f32_e32 v6, v96, v6
	v_fma_f32 v11, v0, s14, -v10
	v_fmac_f32_e32 v10, 0x3f3d2fb0, v0
	v_fma_f32 v15, v0, s12, -v14
	v_fmac_f32_e32 v14, 0x3ee437d1, v0
	v_fma_f32 v19, v0, s4, -v18
	v_fmac_f32_e32 v18, 0x3dbcf732, v0
	v_fma_f32 v123, v0, s5, -v122
	v_fmac_f32_e32 v122, 0xbe8c1d8e, v0
	v_fma_f32 v139, v0, s13, -v138
	v_fmac_f32_e32 v138, 0xbf1a4643, v0
	v_fma_f32 v147, v0, s15, -v146
	v_fmac_f32_e32 v146, 0xbf59a7d5, v0
	v_add_f32_e32 v0, v96, v5
	v_add_f32_e32 v5, v208, v240
	;; [unrolled: 1-line block ×3, first 2 shown]
	v_mul_f32_e32 v171, 0xbf2c7751, v168
	v_fmac_f32_e32 v170, 0x3f3d2fb0, v4
	v_add_f32_e32 v8, v97, v8
	v_add_f32_e32 v6, v170, v6
	v_fma_f32 v170, v5, s14, -v171
	v_add_f32_e32 v8, v170, v8
	v_mul_f32_e32 v170, 0xbf7ee86f, v169
	v_add_f32_e32 v11, v96, v11
	v_mov_b32_e32 v172, v171
	v_fma_f32 v171, v4, s4, -v170
	v_add_f32_e32 v10, v96, v10
	v_add_f32_e32 v11, v171, v11
	v_mul_f32_e32 v171, 0xbf7ee86f, v168
	v_fmac_f32_e32 v170, 0x3dbcf732, v4
	v_add_f32_e32 v12, v97, v12
	v_add_f32_e32 v10, v170, v10
	v_fma_f32 v170, v5, s4, -v171
	v_add_f32_e32 v9, v97, v9
	v_fmac_f32_e32 v172, 0x3f3d2fb0, v5
	v_add_f32_e32 v12, v170, v12
	v_mul_f32_e32 v170, 0xbf4c4adb, v169
	v_add_f32_e32 v15, v96, v15
	v_add_f32_e32 v9, v172, v9
	v_mov_b32_e32 v172, v171
	v_fma_f32 v171, v4, s13, -v170
	v_add_f32_e32 v14, v96, v14
	v_add_f32_e32 v15, v171, v15
	v_mul_f32_e32 v171, 0xbf4c4adb, v168
	v_fmac_f32_e32 v170, 0xbf1a4643, v4
	v_add_f32_e32 v16, v97, v16
	v_add_f32_e32 v14, v170, v14
	v_fma_f32 v170, v5, s13, -v171
	v_add_f32_e32 v13, v97, v13
	v_fmac_f32_e32 v172, 0x3dbcf732, v5
	v_add_f32_e32 v16, v170, v16
	v_mul_f32_e32 v170, 0xbe3c28d5, v169
	v_add_f32_e32 v19, v96, v19
	;; [unrolled: 15-line block ×5, first 2 shown]
	v_add_f32_e32 v137, v172, v137
	v_mov_b32_e32 v172, v171
	v_fma_f32 v171, v4, s12, -v170
	v_add_f32_e32 v146, v96, v146
	v_add_f32_e32 v147, v171, v147
	v_mul_f32_e32 v171, 0x3f65296c, v168
	v_fmac_f32_e32 v170, 0x3ee437d1, v4
	v_add_f32_e32 v164, v97, v164
	v_add_f32_e32 v146, v170, v146
	v_fma_f32 v170, v5, s12, -v171
	v_mul_f32_e32 v169, 0x3eb8f4ab, v169
	v_add_f32_e32 v166, v96, v166
	v_add_f32_e32 v164, v170, v164
	v_fma_f32 v170, v4, s16, -v169
	v_mul_f32_e32 v168, 0x3eb8f4ab, v168
	v_add_f32_e32 v166, v170, v166
	v_mov_b32_e32 v170, v168
	v_fmac_f32_e32 v169, 0x3f6eb680, v4
	v_add_f32_e32 v167, v97, v167
	v_add_f32_e32 v1, v97, v1
	v_fmac_f32_e32 v170, 0x3f6eb680, v5
	v_add_f32_e32 v0, v169, v0
	v_fma_f32 v4, v5, s16, -v168
	v_sub_f32_e32 v169, v210, v239
	v_add_f32_e32 v145, v97, v145
	v_fmac_f32_e32 v172, 0xbe8c1d8e, v5
	v_add_f32_e32 v167, v170, v167
	v_add_f32_e32 v1, v4, v1
	;; [unrolled: 1-line block ×3, first 2 shown]
	v_mul_f32_e32 v170, 0xbf65296c, v169
	v_add_f32_e32 v145, v172, v145
	v_mov_b32_e32 v172, v171
	v_sub_f32_e32 v168, v202, v232
	v_fma_f32 v171, v4, s12, -v170
	v_fmac_f32_e32 v172, 0x3ee437d1, v5
	v_add_f32_e32 v5, v210, v239
	v_add_f32_e32 v7, v171, v7
	v_mul_f32_e32 v171, 0xbf65296c, v168
	v_fmac_f32_e32 v170, 0x3ee437d1, v4
	v_add_f32_e32 v6, v170, v6
	v_fma_f32 v170, v5, s12, -v171
	v_add_f32_e32 v165, v97, v165
	v_add_f32_e32 v8, v170, v8
	v_mul_f32_e32 v170, 0xbf4c4adb, v169
	v_add_f32_e32 v165, v172, v165
	v_mov_b32_e32 v172, v171
	v_fma_f32 v171, v4, s13, -v170
	v_add_f32_e32 v11, v171, v11
	v_mul_f32_e32 v171, 0xbf4c4adb, v168
	v_fmac_f32_e32 v170, 0xbf1a4643, v4
	v_add_f32_e32 v10, v170, v10
	v_fma_f32 v170, v5, s13, -v171
	v_fmac_f32_e32 v172, 0x3ee437d1, v5
	v_add_f32_e32 v12, v170, v12
	v_mul_f32_e32 v170, 0x3e3c28d5, v169
	v_add_f32_e32 v9, v172, v9
	v_mov_b32_e32 v172, v171
	v_fma_f32 v171, v4, s17, -v170
	v_add_f32_e32 v15, v171, v15
	v_mul_f32_e32 v171, 0x3e3c28d5, v168
	v_fmac_f32_e32 v170, 0xbf7ba420, v4
	v_add_f32_e32 v14, v170, v14
	v_fma_f32 v170, v5, s17, -v171
	v_fmac_f32_e32 v172, 0xbf1a4643, v5
	;; [unrolled: 11-line block ×5, first 2 shown]
	v_add_f32_e32 v144, v170, v144
	v_mul_f32_e32 v170, 0xbf7ee86f, v169
	v_add_f32_e32 v137, v172, v137
	v_mov_b32_e32 v172, v171
	v_fma_f32 v171, v4, s4, -v170
	v_add_f32_e32 v147, v171, v147
	v_mul_f32_e32 v171, 0xbf7ee86f, v168
	v_fmac_f32_e32 v170, 0x3dbcf732, v4
	v_add_f32_e32 v146, v170, v146
	v_fma_f32 v170, v5, s4, -v171
	v_mul_f32_e32 v169, 0xbf06c442, v169
	v_add_f32_e32 v164, v170, v164
	v_fma_f32 v170, v4, s15, -v169
	v_mul_f32_e32 v168, 0xbf06c442, v168
	v_add_f32_e32 v166, v170, v166
	v_mov_b32_e32 v170, v168
	v_fmac_f32_e32 v169, 0xbf59a7d5, v4
	v_fmac_f32_e32 v170, 0xbf59a7d5, v5
	v_add_f32_e32 v0, v169, v0
	v_fma_f32 v4, v5, s15, -v168
	v_sub_f32_e32 v169, v212, v238
	v_fmac_f32_e32 v172, 0x3f6eb680, v5
	v_add_f32_e32 v167, v170, v167
	v_add_f32_e32 v1, v4, v1
	v_add_f32_e32 v4, v203, v230
	v_mul_f32_e32 v170, 0xbf7ee86f, v169
	v_add_f32_e32 v145, v172, v145
	v_mov_b32_e32 v172, v171
	v_sub_f32_e32 v168, v203, v230
	v_fma_f32 v171, v4, s4, -v170
	v_fmac_f32_e32 v172, 0x3dbcf732, v5
	v_add_f32_e32 v5, v212, v238
	v_add_f32_e32 v7, v171, v7
	v_mul_f32_e32 v171, 0xbf7ee86f, v168
	v_fmac_f32_e32 v170, 0x3dbcf732, v4
	v_add_f32_e32 v6, v170, v6
	v_fma_f32 v170, v5, s4, -v171
	v_add_f32_e32 v8, v170, v8
	v_mul_f32_e32 v170, 0xbe3c28d5, v169
	v_add_f32_e32 v165, v172, v165
	v_mov_b32_e32 v172, v171
	v_fma_f32 v171, v4, s17, -v170
	v_add_f32_e32 v11, v171, v11
	v_mul_f32_e32 v171, 0xbe3c28d5, v168
	v_fmac_f32_e32 v170, 0xbf7ba420, v4
	v_add_f32_e32 v10, v170, v10
	v_fma_f32 v170, v5, s17, -v171
	v_fmac_f32_e32 v172, 0x3dbcf732, v5
	v_add_f32_e32 v12, v170, v12
	v_mul_f32_e32 v170, 0x3f763a35, v169
	v_add_f32_e32 v9, v172, v9
	v_mov_b32_e32 v172, v171
	v_fma_f32 v171, v4, s5, -v170
	v_add_f32_e32 v15, v171, v15
	v_mul_f32_e32 v171, 0x3f763a35, v168
	v_fmac_f32_e32 v170, 0xbe8c1d8e, v4
	v_add_f32_e32 v14, v170, v14
	v_fma_f32 v170, v5, s5, -v171
	v_fmac_f32_e32 v172, 0xbf7ba420, v5
	v_add_f32_e32 v16, v170, v16
	v_mul_f32_e32 v170, 0x3eb8f4ab, v169
	v_add_f32_e32 v13, v172, v13
	v_mov_b32_e32 v172, v171
	v_fma_f32 v171, v4, s16, -v170
	v_add_f32_e32 v19, v171, v19
	v_mul_f32_e32 v171, 0x3eb8f4ab, v168
	v_fmac_f32_e32 v170, 0x3f6eb680, v4
	v_add_f32_e32 v18, v170, v18
	v_fma_f32 v170, v5, s16, -v171
	v_fmac_f32_e32 v172, 0xbe8c1d8e, v5
	v_add_f32_e32 v120, v170, v120
	v_mul_f32_e32 v170, 0xbf65296c, v169
	v_add_f32_e32 v17, v172, v17
	v_mov_b32_e32 v172, v171
	v_fma_f32 v171, v4, s12, -v170
	v_add_f32_e32 v123, v171, v123
	v_mul_f32_e32 v171, 0xbf65296c, v168
	v_fmac_f32_e32 v170, 0x3ee437d1, v4
	v_add_f32_e32 v122, v170, v122
	v_fma_f32 v170, v5, s12, -v171
	v_fmac_f32_e32 v172, 0x3f6eb680, v5
	v_add_f32_e32 v136, v170, v136
	v_mul_f32_e32 v170, 0xbf06c442, v169
	v_add_f32_e32 v121, v172, v121
	v_mov_b32_e32 v172, v171
	v_fma_f32 v171, v4, s15, -v170
	v_add_f32_e32 v139, v171, v139
	v_mul_f32_e32 v171, 0xbf06c442, v168
	v_fmac_f32_e32 v170, 0xbf59a7d5, v4
	v_add_f32_e32 v138, v170, v138
	v_fma_f32 v170, v5, s15, -v171
	v_fmac_f32_e32 v172, 0x3ee437d1, v5
	v_add_f32_e32 v144, v170, v144
	v_mul_f32_e32 v170, 0x3f4c4adb, v169
	v_add_f32_e32 v137, v172, v137
	v_mov_b32_e32 v172, v171
	v_fma_f32 v171, v4, s13, -v170
	v_add_f32_e32 v147, v171, v147
	v_mul_f32_e32 v171, 0x3f4c4adb, v168
	v_fmac_f32_e32 v170, 0xbf1a4643, v4
	v_add_f32_e32 v146, v170, v146
	v_fma_f32 v170, v5, s13, -v171
	v_mul_f32_e32 v169, 0x3f2c7751, v169
	v_add_f32_e32 v164, v170, v164
	v_fma_f32 v170, v4, s14, -v169
	v_mul_f32_e32 v168, 0x3f2c7751, v168
	v_add_f32_e32 v166, v170, v166
	v_mov_b32_e32 v170, v168
	v_fmac_f32_e32 v169, 0x3f3d2fb0, v4
	v_fmac_f32_e32 v170, 0x3f3d2fb0, v5
	v_add_f32_e32 v0, v169, v0
	v_fma_f32 v4, v5, s14, -v168
	v_sub_f32_e32 v169, v224, v237
	v_fmac_f32_e32 v172, 0xbf59a7d5, v5
	v_add_f32_e32 v167, v170, v167
	v_add_f32_e32 v1, v4, v1
	;; [unrolled: 1-line block ×3, first 2 shown]
	v_mul_f32_e32 v170, 0xbf763a35, v169
	v_add_f32_e32 v145, v172, v145
	v_mov_b32_e32 v172, v171
	v_sub_f32_e32 v168, v204, v228
	v_fma_f32 v171, v4, s5, -v170
	v_fmac_f32_e32 v172, 0xbf1a4643, v5
	v_add_f32_e32 v5, v224, v237
	v_add_f32_e32 v7, v171, v7
	v_mul_f32_e32 v171, 0xbf763a35, v168
	v_fmac_f32_e32 v170, 0xbe8c1d8e, v4
	v_add_f32_e32 v6, v170, v6
	v_fma_f32 v170, v5, s5, -v171
	v_add_f32_e32 v8, v170, v8
	v_mul_f32_e32 v170, 0x3f06c442, v169
	v_add_f32_e32 v165, v172, v165
	v_mov_b32_e32 v172, v171
	v_fma_f32 v171, v4, s15, -v170
	v_add_f32_e32 v11, v171, v11
	v_mul_f32_e32 v171, 0x3f06c442, v168
	v_fmac_f32_e32 v170, 0xbf59a7d5, v4
	v_add_f32_e32 v10, v170, v10
	v_fma_f32 v170, v5, s15, -v171
	v_fmac_f32_e32 v172, 0xbe8c1d8e, v5
	v_add_f32_e32 v12, v170, v12
	v_mul_f32_e32 v170, 0x3f2c7751, v169
	v_add_f32_e32 v9, v172, v9
	v_mov_b32_e32 v172, v171
	v_fma_f32 v171, v4, s14, -v170
	v_add_f32_e32 v15, v171, v15
	v_mul_f32_e32 v171, 0x3f2c7751, v168
	v_fmac_f32_e32 v170, 0x3f3d2fb0, v4
	v_add_f32_e32 v14, v170, v14
	v_fma_f32 v170, v5, s14, -v171
	v_fmac_f32_e32 v172, 0xbf59a7d5, v5
	;; [unrolled: 11-line block ×5, first 2 shown]
	v_add_f32_e32 v144, v170, v144
	v_mul_f32_e32 v170, 0xbeb8f4ab, v169
	v_add_f32_e32 v137, v172, v137
	v_mov_b32_e32 v172, v171
	v_fma_f32 v171, v4, s16, -v170
	v_add_f32_e32 v147, v171, v147
	v_mul_f32_e32 v171, 0xbeb8f4ab, v168
	v_fmac_f32_e32 v170, 0x3f6eb680, v4
	v_add_f32_e32 v146, v170, v146
	v_fma_f32 v170, v5, s16, -v171
	v_mul_f32_e32 v169, 0xbf4c4adb, v169
	v_add_f32_e32 v164, v170, v164
	v_fma_f32 v170, v4, s13, -v169
	v_mul_f32_e32 v168, 0xbf4c4adb, v168
	v_add_f32_e32 v166, v170, v166
	v_mov_b32_e32 v170, v168
	v_fmac_f32_e32 v169, 0xbf1a4643, v4
	v_fmac_f32_e32 v170, 0xbf1a4643, v5
	v_add_f32_e32 v0, v169, v0
	v_fma_f32 v4, v5, s13, -v168
	v_sub_f32_e32 v169, v225, v235
	v_fmac_f32_e32 v172, 0x3dbcf732, v5
	v_add_f32_e32 v167, v170, v167
	v_add_f32_e32 v1, v4, v1
	v_add_f32_e32 v4, v205, v226
	v_mul_f32_e32 v170, 0xbf4c4adb, v169
	v_add_f32_e32 v145, v172, v145
	v_mov_b32_e32 v172, v171
	v_sub_f32_e32 v168, v205, v226
	v_fma_f32 v171, v4, s13, -v170
	v_fmac_f32_e32 v172, 0x3f6eb680, v5
	v_add_f32_e32 v5, v225, v235
	v_add_f32_e32 v7, v171, v7
	v_mul_f32_e32 v171, 0xbf4c4adb, v168
	v_fmac_f32_e32 v170, 0xbf1a4643, v4
	v_add_f32_e32 v6, v170, v6
	v_fma_f32 v170, v5, s13, -v171
	v_add_f32_e32 v8, v170, v8
	v_mul_f32_e32 v170, 0x3f763a35, v169
	v_add_f32_e32 v165, v172, v165
	v_mov_b32_e32 v172, v171
	v_fma_f32 v171, v4, s5, -v170
	v_add_f32_e32 v11, v171, v11
	v_mul_f32_e32 v171, 0x3f763a35, v168
	v_fmac_f32_e32 v170, 0xbe8c1d8e, v4
	v_add_f32_e32 v10, v170, v10
	v_fma_f32 v170, v5, s5, -v171
	v_fmac_f32_e32 v172, 0xbf1a4643, v5
	v_add_f32_e32 v12, v170, v12
	v_mul_f32_e32 v170, 0xbeb8f4ab, v169
	v_add_f32_e32 v9, v172, v9
	v_mov_b32_e32 v172, v171
	v_fma_f32 v171, v4, s16, -v170
	v_add_f32_e32 v15, v171, v15
	v_mul_f32_e32 v171, 0xbeb8f4ab, v168
	v_fmac_f32_e32 v170, 0x3f6eb680, v4
	v_add_f32_e32 v14, v170, v14
	v_fma_f32 v170, v5, s16, -v171
	v_fmac_f32_e32 v172, 0xbe8c1d8e, v5
	v_add_f32_e32 v16, v170, v16
	v_mul_f32_e32 v170, 0xbf06c442, v169
	v_add_f32_e32 v13, v172, v13
	v_mov_b32_e32 v172, v171
	v_fma_f32 v171, v4, s15, -v170
	v_add_f32_e32 v19, v171, v19
	v_mul_f32_e32 v171, 0xbf06c442, v168
	v_fmac_f32_e32 v170, 0xbf59a7d5, v4
	v_add_f32_e32 v18, v170, v18
	v_fma_f32 v170, v5, s15, -v171
	v_fmac_f32_e32 v172, 0x3f6eb680, v5
	v_add_f32_e32 v120, v170, v120
	v_mul_f32_e32 v170, 0x3f7ee86f, v169
	v_add_f32_e32 v17, v172, v17
	v_mov_b32_e32 v172, v171
	v_fma_f32 v171, v4, s4, -v170
	v_add_f32_e32 v123, v171, v123
	v_mul_f32_e32 v171, 0x3f7ee86f, v168
	v_fmac_f32_e32 v170, 0x3dbcf732, v4
	v_add_f32_e32 v122, v170, v122
	v_fma_f32 v170, v5, s4, -v171
	v_fmac_f32_e32 v172, 0xbf59a7d5, v5
	v_add_f32_e32 v136, v170, v136
	v_mul_f32_e32 v170, 0xbf2c7751, v169
	v_add_f32_e32 v121, v172, v121
	v_mov_b32_e32 v172, v171
	v_fma_f32 v171, v4, s14, -v170
	v_add_f32_e32 v139, v171, v139
	v_mul_f32_e32 v171, 0xbf2c7751, v168
	v_fmac_f32_e32 v170, 0x3f3d2fb0, v4
	v_add_f32_e32 v138, v170, v138
	v_fma_f32 v170, v5, s14, -v171
	v_fmac_f32_e32 v172, 0x3dbcf732, v5
	v_add_f32_e32 v144, v170, v144
	v_mul_f32_e32 v170, 0xbe3c28d5, v169
	v_add_f32_e32 v137, v172, v137
	v_mov_b32_e32 v172, v171
	v_fma_f32 v171, v4, s17, -v170
	v_add_f32_e32 v147, v171, v147
	v_mul_f32_e32 v171, 0xbe3c28d5, v168
	v_fmac_f32_e32 v170, 0xbf7ba420, v4
	v_add_f32_e32 v146, v170, v146
	v_fma_f32 v170, v5, s17, -v171
	v_mul_f32_e32 v169, 0x3f65296c, v169
	v_add_f32_e32 v164, v170, v164
	v_fma_f32 v170, v4, s12, -v169
	v_mul_f32_e32 v168, 0x3f65296c, v168
	v_add_f32_e32 v166, v170, v166
	v_mov_b32_e32 v170, v168
	v_fmac_f32_e32 v169, 0x3ee437d1, v4
	v_fmac_f32_e32 v170, 0x3ee437d1, v5
	v_add_f32_e32 v0, v169, v0
	v_fma_f32 v4, v5, s12, -v168
	v_sub_f32_e32 v169, v227, v233
	v_fmac_f32_e32 v172, 0x3f3d2fb0, v5
	v_add_f32_e32 v167, v170, v167
	v_add_f32_e32 v4, v4, v1
	;; [unrolled: 1-line block ×3, first 2 shown]
	v_mul_f32_e32 v170, 0xbf06c442, v169
	v_add_f32_e32 v145, v172, v145
	v_mov_b32_e32 v172, v171
	v_sub_f32_e32 v168, v207, v213
	v_fma_f32 v171, v1, s15, -v170
	v_fmac_f32_e32 v172, 0xbf7ba420, v5
	v_add_f32_e32 v5, v227, v233
	v_add_f32_e32 v171, v171, v7
	v_mul_f32_e32 v7, 0xbf06c442, v168
	v_fmac_f32_e32 v170, 0xbf59a7d5, v1
	v_add_f32_e32 v173, v170, v6
	v_fma_f32 v6, v5, s15, -v7
	v_add_f32_e32 v174, v6, v8
	v_mul_f32_e32 v6, 0x3f65296c, v169
	v_add_f32_e32 v165, v172, v165
	v_mov_b32_e32 v172, v7
	v_fma_f32 v7, v1, s12, -v6
	v_add_f32_e32 v175, v7, v11
	v_mul_f32_e32 v7, 0x3f65296c, v168
	v_fmac_f32_e32 v6, 0x3ee437d1, v1
	v_add_f32_e32 v176, v6, v10
	v_fma_f32 v6, v5, s12, -v7
	v_add_f32_e32 v183, v6, v12
	v_mul_f32_e32 v6, 0xbf7ee86f, v169
	v_mov_b32_e32 v8, v7
	v_fma_f32 v7, v1, s4, -v6
	v_add_f32_e32 v15, v7, v15
	v_mul_f32_e32 v7, 0xbf7ee86f, v168
	v_fmac_f32_e32 v6, 0x3dbcf732, v1
	v_add_f32_e32 v14, v6, v14
	v_fma_f32 v6, v5, s4, -v7
	v_fmac_f32_e32 v8, 0x3ee437d1, v5
	v_add_f32_e32 v16, v6, v16
	v_mul_f32_e32 v6, 0x3f4c4adb, v169
	v_add_f32_e32 v13, v8, v13
	v_mov_b32_e32 v8, v7
	v_fma_f32 v7, v1, s13, -v6
	v_add_f32_e32 v19, v7, v19
	v_mul_f32_e32 v7, 0x3f4c4adb, v168
	v_fmac_f32_e32 v6, 0xbf1a4643, v1
	v_add_f32_e32 v18, v6, v18
	v_fma_f32 v6, v5, s13, -v7
	v_fmac_f32_e32 v8, 0x3dbcf732, v5
	v_add_f32_e32 v215, v6, v120
	v_mul_f32_e32 v6, 0xbeb8f4ab, v169
	v_add_f32_e32 v17, v8, v17
	;; [unrolled: 11-line block ×3, first 2 shown]
	v_mov_b32_e32 v8, v7
	v_fma_f32 v7, v1, s17, -v6
	v_fmac_f32_e32 v8, 0x3f6eb680, v5
	v_add_f32_e32 v10, v7, v139
	v_mul_f32_e32 v7, 0xbe3c28d5, v168
	v_add_f32_e32 v12, v8, v137
	v_mov_b32_e32 v8, v7
	v_fmac_f32_e32 v172, 0xbf59a7d5, v5
	v_fmac_f32_e32 v8, 0xbf7ba420, v5
	;; [unrolled: 1-line block ×3, first 2 shown]
	v_mul_f32_e32 v120, 0x3f2c7751, v169
	v_add_f32_e32 v172, v172, v9
	v_add_f32_e32 v9, v8, v145
	;; [unrolled: 1-line block ×3, first 2 shown]
	v_fma_f32 v6, v5, s17, -v7
	v_fma_f32 v7, v1, s14, -v120
	v_mul_f32_e32 v121, 0x3f2c7751, v168
	v_fmac_f32_e32 v120, 0x3f3d2fb0, v1
	v_add_f32_e32 v182, v120, v146
	v_fma_f32 v120, v5, s14, -v121
	v_add_f32_e32 v181, v120, v164
	v_mul_f32_e32 v120, 0xbf763a35, v169
	v_mov_b32_e32 v122, v121
	v_fma_f32 v121, v1, s5, -v120
	v_fmac_f32_e32 v122, 0x3f3d2fb0, v5
	v_add_f32_e32 v178, v121, v166
	v_mul_f32_e32 v121, 0xbf763a35, v168
	v_add_f32_e32 v177, v122, v165
	v_mov_b32_e32 v122, v121
	v_fmac_f32_e32 v120, 0xbe8c1d8e, v1
	v_fmac_f32_e32 v122, 0xbe8c1d8e, v5
	v_add_f32_e32 v1, v120, v0
	v_fma_f32 v0, v5, s5, -v121
	v_sub_f32_e32 v5, v229, v231
	v_add_f32_e32 v179, v122, v167
	v_add_f32_e32 v0, v0, v4
	;; [unrolled: 1-line block ×3, first 2 shown]
	v_sub_f32_e32 v4, v209, v211
	v_mul_f32_e32 v122, 0xbe3c28d5, v5
	v_add_f32_e32 v242, v229, v231
	v_fma_f32 v120, v180, s17, -v122
	v_mul_f32_e32 v123, 0xbe3c28d5, v4
	v_fmac_f32_e32 v122, 0xbf7ba420, v180
	v_mul_f32_e32 v137, 0x3eb8f4ab, v4
	v_mov_b32_e32 v121, v123
	v_add_f32_e32 v138, v122, v173
	v_fma_f32 v122, v242, s17, -v123
	v_mov_b32_e32 v123, v137
	v_fmac_f32_e32 v123, 0x3f6eb680, v242
	v_add_f32_e32 v123, v123, v13
	v_fma_f32 v13, v242, s16, -v137
	v_add_f32_e32 v137, v13, v183
	v_mul_f32_e32 v13, 0xbf06c442, v5
	v_add_f32_e32 v6, v6, v144
	v_fma_f32 v144, v180, s15, -v13
	v_add_f32_e32 v144, v144, v15
	v_mul_f32_e32 v15, 0xbf06c442, v4
	v_fmac_f32_e32 v13, 0xbf59a7d5, v180
	v_add_f32_e32 v166, v13, v14
	v_fma_f32 v13, v242, s15, -v15
	v_add_f32_e32 v167, v13, v16
	v_mul_f32_e32 v13, 0x3f2c7751, v5
	v_fma_f32 v14, v180, s14, -v13
	v_add_f32_e32 v146, v14, v19
	v_mul_f32_e32 v14, 0x3f2c7751, v4
	v_fmac_f32_e32 v13, 0x3f3d2fb0, v180
	v_add_f32_e32 v164, v13, v18
	v_fma_f32 v13, v242, s14, -v14
	v_add_f32_e32 v165, v13, v215
	v_mul_f32_e32 v13, 0xbf4c4adb, v5
	v_mov_b32_e32 v145, v15
	v_mov_b32_e32 v15, v14
	v_fma_f32 v14, v180, s13, -v13
	v_fmac_f32_e32 v15, 0x3f3d2fb0, v242
	v_add_f32_e32 v168, v14, v216
	v_mul_f32_e32 v14, 0xbf4c4adb, v4
	v_add_f32_e32 v7, v7, v147
	v_add_f32_e32 v147, v15, v214
	v_mov_b32_e32 v15, v14
	v_mul_f32_e32 v136, 0x3eb8f4ab, v5
	v_fmac_f32_e32 v15, 0xbf1a4643, v242
	v_add_f32_e32 v139, v122, v174
	v_fma_f32 v122, v180, s16, -v136
	v_add_f32_e32 v169, v15, v12
	v_fma_f32 v12, v242, s13, -v14
	v_add_f32_e32 v122, v122, v175
	v_add_f32_e32 v175, v12, v11
	v_mul_f32_e32 v11, 0x3f65296c, v5
	v_fmac_f32_e32 v13, 0xbf1a4643, v180
	v_fma_f32 v12, v180, s12, -v11
	v_fmac_f32_e32 v121, 0xbf7ba420, v242
	v_add_f32_e32 v174, v13, v170
	v_add_f32_e32 v170, v12, v10
	v_mul_f32_e32 v10, 0x3f65296c, v4
	v_fmac_f32_e32 v11, 0x3ee437d1, v180
	v_add_f32_e32 v121, v121, v172
	v_add_f32_e32 v172, v11, v8
	v_fma_f32 v8, v242, s12, -v10
	v_add_f32_e32 v173, v8, v6
	v_mul_f32_e32 v6, 0xbf763a35, v5
	v_fmac_f32_e32 v136, 0x3f6eb680, v180
	v_fma_f32 v8, v180, s5, -v6
	v_add_f32_e32 v136, v136, v176
	v_add_f32_e32 v176, v8, v7
	v_mul_f32_e32 v7, 0xbf763a35, v4
	v_fmac_f32_e32 v6, 0xbe8c1d8e, v180
	v_add_f32_e32 v182, v6, v182
	v_fma_f32 v6, v242, s5, -v7
	v_mul_f32_e32 v5, 0x3f7ee86f, v5
	v_add_f32_e32 v183, v6, v181
	v_fma_f32 v6, v180, s4, -v5
	v_mul_f32_e32 v4, 0x3f7ee86f, v4
	v_fmac_f32_e32 v5, 0x3dbcf732, v180
	v_add_f32_e32 v180, v5, v1
	v_fma_f32 v1, v242, s4, -v4
	v_mov_b32_e32 v12, v10
	v_mov_b32_e32 v8, v7
	v_add_f32_e32 v178, v6, v178
	v_mov_b32_e32 v6, v4
	v_add_f32_e32 v181, v1, v0
	v_mul_u32_u24_e32 v0, 0x77, v198
	v_mul_u32_u24_e32 v1, 0x77, v200
	v_fmac_f32_e32 v145, 0xbf59a7d5, v242
	v_fmac_f32_e32 v12, 0x3ee437d1, v242
	;; [unrolled: 1-line block ×4, first 2 shown]
	v_add_u32_sdwa v0, v0, v199 dst_sel:DWORD dst_unused:UNUSED_PAD src0_sel:DWORD src1_sel:BYTE_0
	v_add_u32_sdwa v1, v1, v201 dst_sel:DWORD dst_unused:UNUSED_PAD src0_sel:DWORD src1_sel:BYTE_0
	v_add_f32_e32 v120, v120, v171
	v_add_f32_e32 v145, v145, v17
	;; [unrolled: 1-line block ×5, first 2 shown]
	v_lshl_add_u32 v0, v0, 3, v217
	v_lshl_add_u32 v1, v1, 3, v217
	s_waitcnt lgkmcnt(0)
	; wave barrier
	ds_write2_b64 v0, v[98:99], v[108:109] offset1:7
	ds_write2_b64 v0, v[110:111], v[114:115] offset0:14 offset1:21
	ds_write2_b64 v0, v[118:119], v[124:125] offset0:28 offset1:35
	;; [unrolled: 1-line block ×7, first 2 shown]
	ds_write_b64 v0, v[100:101] offset:896
	ds_write2_b64 v1, v[142:143], v[152:153] offset1:7
	ds_write2_b64 v1, v[154:155], v[158:159] offset0:14 offset1:21
	ds_write2_b64 v1, v[162:163], v[184:185] offset0:28 offset1:35
	;; [unrolled: 1-line block ×7, first 2 shown]
	ds_write_b64 v1, v[102:103] offset:896
	s_mov_b64 s[4:5], exec
	s_and_b64 s[12:13], s[4:5], vcc
	v_mov_b32_e32 v21, v217
	s_mov_b64 exec, s[12:13]
	s_cbranch_execz .LBB0_5
; %bb.4:
	v_add_f32_e32 v2, v96, v2
	v_add_f32_e32 v2, v2, v3
	v_add_f32_e32 v4, v97, v206
	v_add_f32_e32 v2, v2, v202
	v_add_f32_e32 v4, v4, v208
	v_add_f32_e32 v2, v2, v203
	v_add_f32_e32 v4, v4, v210
	v_add_f32_e32 v2, v2, v204
	v_add_f32_e32 v4, v4, v212
	v_add_f32_e32 v2, v2, v205
	v_add_f32_e32 v4, v4, v224
	v_add_f32_e32 v2, v2, v207
	v_add_f32_e32 v4, v4, v225
	v_add_f32_e32 v2, v2, v209
	v_add_f32_e32 v4, v4, v227
	v_add_f32_e32 v2, v2, v211
	v_add_f32_e32 v4, v4, v229
	v_add_f32_e32 v2, v2, v213
	v_add_f32_e32 v4, v4, v231
	v_add_f32_e32 v2, v2, v226
	v_add_f32_e32 v4, v4, v233
	v_add_f32_e32 v2, v2, v228
	v_add_f32_e32 v4, v4, v235
	v_add_f32_e32 v2, v2, v230
	v_add_f32_e32 v4, v4, v237
	v_add_f32_e32 v2, v2, v232
	v_add_f32_e32 v4, v4, v238
	v_add_f32_e32 v2, v2, v234
	v_add_f32_e32 v4, v4, v239
	v_add_f32_e32 v3, v2, v236
	v_and_b32_e32 v2, 0xff, v22
	v_add_f32_e32 v4, v4, v240
	v_lshl_add_u32 v2, v2, 3, v21
	v_add_f32_e32 v4, v4, v241
	v_add_u32_e32 v5, 0x800, v2
	ds_write2_b64 v5, v[3:4], v[120:121] offset0:220 offset1:227
	ds_write2_b64 v5, v[122:123], v[144:145] offset0:234 offset1:241
	;; [unrolled: 1-line block ×3, first 2 shown]
	v_add_u32_e32 v3, 0x1000, v2
	ds_write2_b64 v3, v[170:171], v[176:177] offset0:6 offset1:13
	ds_write2_b64 v3, v[178:179], v[180:181] offset0:20 offset1:27
	;; [unrolled: 1-line block ×5, first 2 shown]
	ds_write_b64 v2, v[138:139] offset:4704
.LBB0_5:
	s_or_b64 exec, exec, s[4:5]
	v_lshlrev_b32_e32 v16, 5, v243
	v_add_u32_e32 v2, 0x800, v255
	v_add_u32_e32 v224, 0xc00, v255
	;; [unrolled: 1-line block ×3, first 2 shown]
	v_lshlrev_b32_e32 v5, 5, v222
	s_waitcnt lgkmcnt(0)
	; wave barrier
	s_waitcnt lgkmcnt(0)
	ds_read2_b64 v[196:199], v255 offset1:17
	ds_read2_b64 v[184:187], v255 offset0:102 offset1:119
	ds_read2_b64 v[8:11], v255 offset0:238 offset1:255
	;; [unrolled: 1-line block ×16, first 2 shown]
	ds_read_b64 v[212:213], v255 offset:4624
	global_load_dwordx4 v[96:99], v16, s[2:3] offset:912
	global_load_dwordx4 v[100:103], v16, s[2:3] offset:896
	;; [unrolled: 1-line block ×4, first 2 shown]
	v_mov_b32_e32 v20, v243
	s_add_u32 s4, s0, 0x1298
	s_addc_u32 s5, s1, 0
	s_movk_i32 s12, 0x1000
	s_waitcnt vmcnt(3) lgkmcnt(14)
	v_mul_f32_e32 v218, v202, v97
	s_waitcnt vmcnt(1) lgkmcnt(11)
	v_mul_f32_e32 v252, v128, v105
	s_waitcnt vmcnt(0)
	v_mul_f32_e32 v5, v125, v109
	v_fma_f32 v214, v124, v108, -v5
	v_mul_f32_e32 v5, v11, v111
	v_fma_f32 v215, v10, v110, -v5
	v_mul_f32_e32 v250, v10, v111
	v_lshlrev_b32_e32 v10, 5, v221
	global_load_dwordx4 v[112:115], v10, s[2:3] offset:912
	global_load_dwordx4 v[116:119], v10, s[2:3] offset:896
	v_mul_f32_e32 v247, v124, v109
	v_mul_f32_e32 v5, v129, v105
	v_fmac_f32_e32 v247, v125, v108
	v_fma_f32 v217, v128, v104, -v5
	v_fmac_f32_e32 v252, v129, v104
	v_mul_f32_e32 v4, v187, v101
	v_fma_f32 v6, v186, v100, -v4
	v_mul_f32_e32 v4, v9, v103
	v_fma_f32 v7, v8, v102, -v4
	v_mul_f32_e32 v4, v203, v97
	v_mul_f32_e32 v216, v8, v103
	v_fma_f32 v8, v202, v96, -v4
	v_mul_f32_e32 v4, v13, v99
	v_fmac_f32_e32 v216, v9, v102
	v_fma_f32 v9, v12, v98, -v4
	v_mul_f32_e32 v219, v186, v101
	v_mul_f32_e32 v4, v12, v99
	v_fmac_f32_e32 v250, v11, v110
	v_fmac_f32_e32 v219, v187, v100
	;; [unrolled: 1-line block ×4, first 2 shown]
	v_sub_f32_e32 v17, v216, v218
	v_sub_f32_e32 v18, v6, v7
	;; [unrolled: 1-line block ×3, first 2 shown]
	v_add_f32_e32 v18, v18, v19
	v_sub_f32_e32 v19, v8, v9
	v_mul_f32_e32 v5, v15, v107
	v_fma_f32 v5, v14, v106, -v5
	v_mul_f32_e32 v253, v14, v107
	v_fmac_f32_e32 v253, v15, v106
	s_waitcnt vmcnt(1)
	v_mul_f32_e32 v240, v130, v113
	s_waitcnt vmcnt(0)
	v_mul_f32_e32 v10, v127, v117
	v_fma_f32 v248, v126, v116, -v10
	s_waitcnt lgkmcnt(9)
	v_mul_f32_e32 v10, v133, v119
	v_fma_f32 v249, v132, v118, -v10
	v_mul_f32_e32 v10, v131, v113
	v_fma_f32 v251, v130, v112, -v10
	s_waitcnt lgkmcnt(8)
	v_mul_f32_e32 v10, v141, v115
	v_mul_f32_e32 v233, v126, v117
	v_fma_f32 v254, v140, v114, -v10
	v_lshlrev_b32_e32 v10, 5, v223
	v_fmac_f32_e32 v233, v127, v116
	v_fmac_f32_e32 v240, v131, v112
	global_load_dwordx4 v[124:127], v10, s[2:3] offset:912
	global_load_dwordx4 v[128:131], v10, s[2:3] offset:896
	v_mul_f32_e32 v236, v132, v119
	v_mul_f32_e32 v244, v140, v115
	v_fmac_f32_e32 v236, v133, v118
	v_fmac_f32_e32 v244, v141, v114
	s_waitcnt vmcnt(1)
	v_mul_f32_e32 v229, v142, v127
	s_waitcnt vmcnt(0) lgkmcnt(7)
	v_mul_f32_e32 v10, v149, v129
	v_fma_f32 v234, v148, v128, -v10
	v_mul_f32_e32 v10, v135, v131
	v_fma_f32 v237, v134, v130, -v10
	s_waitcnt lgkmcnt(6)
	v_mul_f32_e32 v10, v153, v125
	v_fma_f32 v241, v152, v124, -v10
	v_mul_f32_e32 v10, v143, v127
	v_mul_f32_e32 v223, v134, v131
	v_fma_f32 v245, v142, v126, -v10
	v_lshlrev_b32_e32 v10, 5, v220
	v_fmac_f32_e32 v223, v135, v130
	v_fmac_f32_e32 v229, v143, v126
	global_load_dwordx4 v[132:135], v10, s[2:3] offset:912
	global_load_dwordx4 v[140:143], v10, s[2:3] offset:896
	v_mul_f32_e32 v221, v148, v129
	v_mul_f32_e32 v226, v152, v125
	v_fmac_f32_e32 v221, v149, v128
	v_fmac_f32_e32 v226, v153, v124
	s_waitcnt vmcnt(1)
	v_mul_f32_e32 v228, v154, v133
	s_waitcnt vmcnt(0)
	v_mul_f32_e32 v10, v151, v141
	v_fma_f32 v238, v150, v140, -v10
	s_waitcnt lgkmcnt(4)
	v_mul_f32_e32 v10, v157, v143
	v_fma_f32 v239, v156, v142, -v10
	v_mul_f32_e32 v10, v155, v133
	v_fma_f32 v242, v154, v132, -v10
	s_waitcnt lgkmcnt(3)
	v_mul_f32_e32 v10, v161, v135
	v_mul_f32_e32 v222, v150, v141
	v_fma_f32 v246, v160, v134, -v10
	v_add_u32_e32 v10, 0xaa0, v16
	v_fmac_f32_e32 v222, v151, v140
	v_fmac_f32_e32 v228, v155, v132
	global_load_dwordx4 v[148:151], v10, s[2:3] offset:912
	global_load_dwordx4 v[152:155], v10, s[2:3] offset:896
	v_mul_f32_e32 v227, v156, v143
	v_mul_f32_e32 v230, v160, v135
	v_fmac_f32_e32 v227, v157, v142
	v_fmac_f32_e32 v230, v161, v134
	s_waitcnt vmcnt(1)
	v_mul_f32_e32 v225, v162, v151
	s_waitcnt vmcnt(0) lgkmcnt(2)
	v_mul_f32_e32 v10, v209, v153
	v_fma_f32 v231, v208, v152, -v10
	v_mul_f32_e32 v10, v159, v155
	v_fma_f32 v232, v158, v154, -v10
	s_waitcnt lgkmcnt(1)
	v_mul_f32_e32 v10, v205, v149
	v_mul_f32_e32 v208, v208, v153
	v_fma_f32 v235, v204, v148, -v10
	v_mul_f32_e32 v10, v163, v151
	v_fmac_f32_e32 v208, v209, v152
	v_mul_f32_e32 v209, v158, v155
	v_fma_f32 v243, v162, v150, -v10
	v_add_u32_e32 v10, 0xcc0, v16
	v_fmac_f32_e32 v209, v159, v154
	v_fmac_f32_e32 v225, v163, v150
	global_load_dwordx4 v[156:159], v10, s[2:3] offset:912
	global_load_dwordx4 v[160:163], v10, s[2:3] offset:896
	v_add_f32_e32 v16, v196, v6
	v_add_f32_e32 v16, v16, v7
	;; [unrolled: 1-line block ×5, first 2 shown]
	v_mul_f32_e32 v220, v204, v149
	v_fmac_f32_e32 v220, v205, v148
	s_mov_b32 s2, 0x3f3bfb3b
	s_mov_b32 s3, 0x3eae86e6
	s_waitcnt vmcnt(1)
	v_mul_f32_e32 v14, v207, v157
	s_waitcnt vmcnt(0)
	v_mul_f32_e32 v11, v201, v163
	v_fma_f32 v13, v200, v162, -v11
	v_mul_f32_e32 v11, v200, v163
	v_fma_f32 v200, -0.5, v16, v196
	v_sub_f32_e32 v16, v219, v4
	v_mov_b32_e32 v202, v200
	v_fmac_f32_e32 v202, 0x3f737871, v16
	v_fmac_f32_e32 v200, 0xbf737871, v16
	;; [unrolled: 1-line block ×6, first 2 shown]
	v_add_f32_e32 v18, v6, v9
	v_fma_f32 v196, -0.5, v18, v196
	v_mov_b32_e32 v204, v196
	v_fmac_f32_e32 v204, 0xbf737871, v17
	v_fmac_f32_e32 v196, 0x3f737871, v17
	;; [unrolled: 1-line block ×4, first 2 shown]
	v_add_f32_e32 v16, v197, v219
	v_add_f32_e32 v16, v16, v216
	;; [unrolled: 1-line block ×5, first 2 shown]
	v_fmac_f32_e32 v11, v201, v162
	v_fma_f32 v201, -0.5, v16, v197
	v_sub_f32_e32 v18, v7, v6
	v_sub_f32_e32 v6, v6, v9
	v_mov_b32_e32 v203, v201
	v_fmac_f32_e32 v203, 0xbf737871, v6
	v_sub_f32_e32 v7, v7, v8
	v_sub_f32_e32 v8, v219, v216
	v_sub_f32_e32 v9, v4, v218
	v_fmac_f32_e32 v201, 0x3f737871, v6
	v_fmac_f32_e32 v203, 0xbf167918, v7
	v_add_f32_e32 v8, v8, v9
	v_fmac_f32_e32 v201, 0x3f167918, v7
	v_fmac_f32_e32 v203, 0x3e9e377a, v8
	;; [unrolled: 1-line block ×3, first 2 shown]
	v_add_f32_e32 v8, v219, v4
	v_fma_f32 v197, -0.5, v8, v197
	v_mov_b32_e32 v205, v197
	v_fmac_f32_e32 v205, 0x3f737871, v7
	v_sub_f32_e32 v8, v216, v219
	v_sub_f32_e32 v4, v218, v4
	v_fmac_f32_e32 v197, 0xbf737871, v7
	v_fmac_f32_e32 v205, 0xbf167918, v6
	v_add_f32_e32 v4, v8, v4
	v_fmac_f32_e32 v197, 0x3f167918, v6
	v_fmac_f32_e32 v205, 0x3e9e377a, v4
	;; [unrolled: 1-line block ×3, first 2 shown]
	v_add_f32_e32 v4, v198, v214
	v_add_f32_e32 v4, v4, v215
	;; [unrolled: 1-line block ×5, first 2 shown]
	v_fma_f32 v8, -0.5, v4, v198
	v_sub_f32_e32 v7, v247, v253
	v_mov_b32_e32 v4, v8
	v_fmac_f32_e32 v4, 0x3f737871, v7
	v_sub_f32_e32 v9, v250, v252
	v_sub_f32_e32 v16, v214, v215
	;; [unrolled: 1-line block ×3, first 2 shown]
	v_fmac_f32_e32 v8, 0xbf737871, v7
	v_fmac_f32_e32 v4, 0x3f167918, v9
	v_add_f32_e32 v16, v16, v17
	v_fmac_f32_e32 v8, 0xbf167918, v9
	v_fmac_f32_e32 v4, 0x3e9e377a, v16
	;; [unrolled: 1-line block ×3, first 2 shown]
	v_add_f32_e32 v16, v214, v5
	v_mul_f32_e32 v10, v211, v161
	v_fma_f32 v198, -0.5, v16, v198
	v_fma_f32 v12, v210, v160, -v10
	v_mul_f32_e32 v10, v210, v161
	v_mov_b32_e32 v210, v198
	v_fmac_f32_e32 v210, 0xbf737871, v9
	v_sub_f32_e32 v16, v215, v214
	v_sub_f32_e32 v17, v217, v5
	v_fmac_f32_e32 v198, 0x3f737871, v9
	v_add_f32_e32 v9, v250, v252
	v_fmac_f32_e32 v210, 0x3f167918, v7
	v_add_f32_e32 v16, v16, v17
	v_fmac_f32_e32 v198, 0xbf167918, v7
	v_fma_f32 v9, -0.5, v9, v199
	v_add_f32_e32 v18, v18, v19
	v_fmac_f32_e32 v210, 0x3e9e377a, v16
	v_fmac_f32_e32 v198, 0x3e9e377a, v16
	v_sub_f32_e32 v16, v214, v5
	v_mov_b32_e32 v5, v9
	v_fmac_f32_e32 v204, 0x3e9e377a, v18
	v_fmac_f32_e32 v196, 0x3e9e377a, v18
	;; [unrolled: 1-line block ×3, first 2 shown]
	v_sub_f32_e32 v17, v215, v217
	v_sub_f32_e32 v18, v247, v250
	;; [unrolled: 1-line block ×3, first 2 shown]
	v_fmac_f32_e32 v9, 0x3f737871, v16
	v_fmac_f32_e32 v5, 0xbf167918, v17
	v_add_f32_e32 v18, v18, v19
	v_fmac_f32_e32 v9, 0x3f167918, v17
	v_fmac_f32_e32 v5, 0x3e9e377a, v18
	v_fmac_f32_e32 v9, 0x3e9e377a, v18
	v_add_f32_e32 v18, v247, v253
	v_add_f32_e32 v7, v199, v247
	v_fmac_f32_e32 v199, -0.5, v18
	v_fmac_f32_e32 v10, v211, v160
	v_mov_b32_e32 v211, v199
	v_fmac_f32_e32 v211, 0x3f737871, v17
	v_fmac_f32_e32 v199, 0xbf737871, v17
	;; [unrolled: 1-line block ×4, first 2 shown]
	v_add_f32_e32 v16, v192, v248
	v_add_f32_e32 v16, v16, v249
	v_fma_f32 v14, v206, v156, -v14
	v_mul_f32_e32 v206, v206, v157
	s_waitcnt lgkmcnt(0)
	v_mul_f32_e32 v15, v213, v159
	v_add_f32_e32 v16, v16, v251
	v_fmac_f32_e32 v206, v207, v156
	v_fma_f32 v15, v212, v158, -v15
	v_mul_f32_e32 v207, v212, v159
	v_add_f32_e32 v212, v16, v254
	v_add_f32_e32 v16, v249, v251
	v_sub_f32_e32 v18, v250, v247
	v_sub_f32_e32 v19, v252, v253
	v_fma_f32 v214, -0.5, v16, v192
	v_add_f32_e32 v18, v18, v19
	v_sub_f32_e32 v16, v233, v244
	v_mov_b32_e32 v216, v214
	v_fmac_f32_e32 v211, 0x3e9e377a, v18
	v_fmac_f32_e32 v199, 0x3e9e377a, v18
	;; [unrolled: 1-line block ×3, first 2 shown]
	v_sub_f32_e32 v17, v236, v240
	v_sub_f32_e32 v18, v248, v249
	;; [unrolled: 1-line block ×3, first 2 shown]
	v_fmac_f32_e32 v214, 0xbf737871, v16
	v_fmac_f32_e32 v216, 0x3f167918, v17
	v_add_f32_e32 v18, v18, v19
	v_fmac_f32_e32 v214, 0xbf167918, v17
	v_fmac_f32_e32 v216, 0x3e9e377a, v18
	;; [unrolled: 1-line block ×3, first 2 shown]
	v_add_f32_e32 v18, v248, v254
	v_fma_f32 v192, -0.5, v18, v192
	v_mov_b32_e32 v218, v192
	v_fmac_f32_e32 v218, 0xbf737871, v17
	v_fmac_f32_e32 v192, 0x3f737871, v17
	;; [unrolled: 1-line block ×4, first 2 shown]
	v_add_f32_e32 v16, v193, v233
	v_add_f32_e32 v16, v16, v236
	;; [unrolled: 1-line block ×3, first 2 shown]
	v_fmac_f32_e32 v207, v213, v158
	v_add_f32_e32 v213, v16, v244
	v_add_f32_e32 v16, v236, v240
	v_sub_f32_e32 v18, v249, v248
	v_sub_f32_e32 v19, v251, v254
	v_fma_f32 v215, -0.5, v16, v193
	v_add_f32_e32 v18, v18, v19
	v_sub_f32_e32 v16, v248, v254
	v_mov_b32_e32 v217, v215
	v_fmac_f32_e32 v218, 0x3e9e377a, v18
	v_fmac_f32_e32 v192, 0x3e9e377a, v18
	;; [unrolled: 1-line block ×3, first 2 shown]
	v_sub_f32_e32 v17, v249, v251
	v_sub_f32_e32 v18, v233, v236
	;; [unrolled: 1-line block ×3, first 2 shown]
	v_fmac_f32_e32 v215, 0x3f737871, v16
	v_fmac_f32_e32 v217, 0xbf167918, v17
	v_add_f32_e32 v18, v18, v19
	v_fmac_f32_e32 v215, 0x3f167918, v17
	v_fmac_f32_e32 v217, 0x3e9e377a, v18
	;; [unrolled: 1-line block ×3, first 2 shown]
	v_add_f32_e32 v18, v233, v244
	v_fma_f32 v193, -0.5, v18, v193
	v_mov_b32_e32 v219, v193
	v_fmac_f32_e32 v219, 0x3f737871, v17
	v_fmac_f32_e32 v193, 0xbf737871, v17
	;; [unrolled: 1-line block ×4, first 2 shown]
	v_add_f32_e32 v16, v194, v234
	v_add_f32_e32 v16, v16, v237
	;; [unrolled: 1-line block ×5, first 2 shown]
	v_sub_f32_e32 v18, v236, v233
	v_sub_f32_e32 v19, v240, v244
	v_fma_f32 v249, -0.5, v16, v194
	v_add_f32_e32 v18, v18, v19
	v_sub_f32_e32 v16, v221, v229
	v_mov_b32_e32 v233, v249
	v_fmac_f32_e32 v219, 0x3e9e377a, v18
	v_fmac_f32_e32 v193, 0x3e9e377a, v18
	;; [unrolled: 1-line block ×3, first 2 shown]
	v_sub_f32_e32 v17, v223, v226
	v_sub_f32_e32 v18, v234, v237
	;; [unrolled: 1-line block ×3, first 2 shown]
	v_fmac_f32_e32 v249, 0xbf737871, v16
	v_fmac_f32_e32 v233, 0x3f167918, v17
	v_add_f32_e32 v18, v18, v19
	v_fmac_f32_e32 v249, 0xbf167918, v17
	v_fmac_f32_e32 v233, 0x3e9e377a, v18
	;; [unrolled: 1-line block ×3, first 2 shown]
	v_add_f32_e32 v18, v234, v245
	v_fma_f32 v194, -0.5, v18, v194
	v_mov_b32_e32 v236, v194
	v_fmac_f32_e32 v236, 0xbf737871, v17
	v_fmac_f32_e32 v194, 0x3f737871, v17
	;; [unrolled: 1-line block ×4, first 2 shown]
	v_add_f32_e32 v16, v195, v221
	v_add_f32_e32 v16, v16, v223
	;; [unrolled: 1-line block ×6, first 2 shown]
	v_sub_f32_e32 v18, v237, v234
	v_sub_f32_e32 v19, v241, v245
	v_fma_f32 v250, -0.5, v16, v195
	v_add_f32_e32 v18, v18, v19
	v_sub_f32_e32 v16, v234, v245
	v_mov_b32_e32 v234, v250
	v_fmac_f32_e32 v236, 0x3e9e377a, v18
	v_fmac_f32_e32 v194, 0x3e9e377a, v18
	;; [unrolled: 1-line block ×3, first 2 shown]
	v_sub_f32_e32 v17, v237, v241
	v_sub_f32_e32 v18, v221, v223
	;; [unrolled: 1-line block ×3, first 2 shown]
	v_fmac_f32_e32 v250, 0x3f737871, v16
	v_fmac_f32_e32 v234, 0xbf167918, v17
	v_add_f32_e32 v18, v18, v19
	v_fmac_f32_e32 v250, 0x3f167918, v17
	v_fmac_f32_e32 v234, 0x3e9e377a, v18
	;; [unrolled: 1-line block ×3, first 2 shown]
	v_add_f32_e32 v18, v221, v229
	v_fmac_f32_e32 v195, -0.5, v18
	v_mov_b32_e32 v237, v195
	v_fmac_f32_e32 v237, 0x3f737871, v17
	v_fmac_f32_e32 v195, 0xbf737871, v17
	;; [unrolled: 1-line block ×4, first 2 shown]
	v_add_f32_e32 v16, v188, v238
	v_add_f32_e32 v16, v16, v239
	;; [unrolled: 1-line block ×5, first 2 shown]
	v_sub_f32_e32 v18, v223, v221
	v_sub_f32_e32 v19, v226, v229
	v_fma_f32 v244, -0.5, v16, v188
	v_add_f32_e32 v18, v18, v19
	v_sub_f32_e32 v17, v222, v230
	v_mov_b32_e32 v251, v244
	v_fmac_f32_e32 v237, 0x3e9e377a, v18
	v_fmac_f32_e32 v195, 0x3e9e377a, v18
	;; [unrolled: 1-line block ×3, first 2 shown]
	v_sub_f32_e32 v18, v227, v228
	v_sub_f32_e32 v16, v238, v239
	;; [unrolled: 1-line block ×3, first 2 shown]
	v_fmac_f32_e32 v244, 0xbf737871, v17
	v_fmac_f32_e32 v251, 0x3f167918, v18
	v_add_f32_e32 v16, v16, v19
	v_fmac_f32_e32 v244, 0xbf167918, v18
	v_fmac_f32_e32 v251, 0x3e9e377a, v16
	;; [unrolled: 1-line block ×3, first 2 shown]
	v_add_f32_e32 v16, v238, v246
	v_fma_f32 v188, -0.5, v16, v188
	v_mov_b32_e32 v16, v188
	v_fmac_f32_e32 v16, 0xbf737871, v18
	v_fmac_f32_e32 v188, 0x3f737871, v18
	;; [unrolled: 1-line block ×4, first 2 shown]
	v_add_f32_e32 v17, v189, v222
	v_add_f32_e32 v17, v17, v227
	;; [unrolled: 1-line block ×5, first 2 shown]
	v_sub_f32_e32 v19, v239, v238
	v_sub_f32_e32 v221, v242, v246
	v_fma_f32 v245, -0.5, v17, v189
	v_add_f32_e32 v7, v7, v252
	v_add_f32_e32 v19, v19, v221
	v_sub_f32_e32 v18, v238, v246
	v_mov_b32_e32 v252, v245
	v_fmac_f32_e32 v16, 0x3e9e377a, v19
	v_fmac_f32_e32 v188, 0x3e9e377a, v19
	;; [unrolled: 1-line block ×3, first 2 shown]
	v_sub_f32_e32 v19, v239, v242
	v_sub_f32_e32 v17, v222, v227
	;; [unrolled: 1-line block ×3, first 2 shown]
	v_fmac_f32_e32 v245, 0x3f737871, v18
	v_fmac_f32_e32 v252, 0xbf167918, v19
	v_add_f32_e32 v17, v17, v221
	v_fmac_f32_e32 v245, 0x3f167918, v19
	v_fmac_f32_e32 v252, 0x3e9e377a, v17
	;; [unrolled: 1-line block ×3, first 2 shown]
	v_add_f32_e32 v17, v222, v230
	v_fma_f32 v189, -0.5, v17, v189
	v_mov_b32_e32 v17, v189
	v_fmac_f32_e32 v17, 0x3f737871, v19
	v_sub_f32_e32 v221, v227, v222
	v_sub_f32_e32 v222, v228, v230
	v_fmac_f32_e32 v189, 0xbf737871, v19
	v_fmac_f32_e32 v17, 0xbf167918, v18
	v_add_f32_e32 v221, v221, v222
	v_fmac_f32_e32 v189, 0x3f167918, v18
	v_add_f32_e32 v19, v232, v235
	v_fmac_f32_e32 v17, 0x3e9e377a, v221
	v_fmac_f32_e32 v189, 0x3e9e377a, v221
	v_fma_f32 v221, -0.5, v19, v190
	v_sub_f32_e32 v19, v208, v225
	v_mov_b32_e32 v226, v221
	v_fmac_f32_e32 v226, 0x3f737871, v19
	v_sub_f32_e32 v222, v209, v220
	v_sub_f32_e32 v223, v231, v232
	;; [unrolled: 1-line block ×3, first 2 shown]
	v_fmac_f32_e32 v221, 0xbf737871, v19
	v_fmac_f32_e32 v226, 0x3f167918, v222
	v_add_f32_e32 v223, v223, v227
	v_fmac_f32_e32 v221, 0xbf167918, v222
	v_fmac_f32_e32 v226, 0x3e9e377a, v223
	;; [unrolled: 1-line block ×3, first 2 shown]
	v_add_f32_e32 v223, v231, v243
	v_add_f32_e32 v18, v190, v231
	v_fma_f32 v190, -0.5, v223, v190
	v_mov_b32_e32 v228, v190
	v_fmac_f32_e32 v228, 0xbf737871, v222
	v_sub_f32_e32 v223, v232, v231
	v_sub_f32_e32 v227, v235, v243
	v_fmac_f32_e32 v190, 0x3f737871, v222
	v_add_f32_e32 v222, v209, v220
	v_fmac_f32_e32 v228, 0x3f167918, v19
	v_add_f32_e32 v223, v223, v227
	v_fmac_f32_e32 v190, 0xbf167918, v19
	v_fma_f32 v222, -0.5, v222, v191
	v_fmac_f32_e32 v228, 0x3e9e377a, v223
	v_fmac_f32_e32 v190, 0x3e9e377a, v223
	v_sub_f32_e32 v223, v231, v243
	v_mov_b32_e32 v227, v222
	v_fmac_f32_e32 v227, 0xbf737871, v223
	v_sub_f32_e32 v230, v232, v235
	v_sub_f32_e32 v229, v208, v209
	v_sub_f32_e32 v231, v225, v220
	v_fmac_f32_e32 v222, 0x3f737871, v223
	v_fmac_f32_e32 v227, 0xbf167918, v230
	v_add_f32_e32 v229, v229, v231
	v_fmac_f32_e32 v222, 0x3f167918, v230
	v_add_f32_e32 v19, v191, v208
	v_fmac_f32_e32 v227, 0x3e9e377a, v229
	v_fmac_f32_e32 v222, 0x3e9e377a, v229
	v_add_f32_e32 v229, v208, v225
	v_add_f32_e32 v19, v19, v209
	v_fmac_f32_e32 v191, -0.5, v229
	v_sub_f32_e32 v208, v209, v208
	v_sub_f32_e32 v209, v220, v225
	v_mov_b32_e32 v229, v191
	v_add_f32_e32 v208, v208, v209
	v_add_f32_e32 v209, v13, v14
	v_fmac_f32_e32 v229, 0x3f737871, v230
	v_fmac_f32_e32 v191, 0xbf737871, v230
	v_fma_f32 v230, -0.5, v209, v184
	v_add_f32_e32 v19, v19, v220
	v_sub_f32_e32 v209, v10, v207
	v_mov_b32_e32 v238, v230
	v_add_f32_e32 v19, v19, v225
	v_fmac_f32_e32 v229, 0xbf167918, v223
	v_fmac_f32_e32 v191, 0x3f167918, v223
	;; [unrolled: 1-line block ×3, first 2 shown]
	v_sub_f32_e32 v220, v11, v206
	v_sub_f32_e32 v223, v12, v13
	;; [unrolled: 1-line block ×3, first 2 shown]
	v_fmac_f32_e32 v230, 0xbf737871, v209
	v_fmac_f32_e32 v238, 0x3f167918, v220
	v_add_f32_e32 v223, v223, v225
	v_fmac_f32_e32 v230, 0xbf167918, v220
	v_fmac_f32_e32 v238, 0x3e9e377a, v223
	;; [unrolled: 1-line block ×3, first 2 shown]
	v_add_f32_e32 v223, v12, v15
	v_fmac_f32_e32 v229, 0x3e9e377a, v208
	v_fmac_f32_e32 v191, 0x3e9e377a, v208
	v_add_f32_e32 v208, v184, v12
	v_fma_f32 v184, -0.5, v223, v184
	v_mov_b32_e32 v242, v184
	v_fmac_f32_e32 v242, 0xbf737871, v220
	v_fmac_f32_e32 v184, 0x3f737871, v220
	v_add_f32_e32 v220, v11, v206
	v_add_f32_e32 v208, v208, v13
	v_fma_f32 v231, -0.5, v220, v185
	v_add_f32_e32 v208, v208, v14
	v_sub_f32_e32 v223, v13, v12
	v_sub_f32_e32 v12, v12, v15
	v_mov_b32_e32 v239, v231
	v_add_f32_e32 v208, v208, v15
	v_sub_f32_e32 v225, v14, v15
	v_fmac_f32_e32 v239, 0xbf737871, v12
	v_sub_f32_e32 v13, v13, v14
	v_sub_f32_e32 v14, v10, v11
	;; [unrolled: 1-line block ×3, first 2 shown]
	v_fmac_f32_e32 v231, 0x3f737871, v12
	v_fmac_f32_e32 v239, 0xbf167918, v13
	v_add_f32_e32 v14, v14, v15
	v_fmac_f32_e32 v231, 0x3f167918, v13
	v_add_f32_e32 v18, v18, v232
	v_fmac_f32_e32 v242, 0x3f167918, v209
	v_fmac_f32_e32 v184, 0xbf167918, v209
	v_add_f32_e32 v209, v185, v10
	v_fmac_f32_e32 v239, 0x3e9e377a, v14
	v_fmac_f32_e32 v231, 0x3e9e377a, v14
	v_add_f32_e32 v14, v10, v207
	v_add_f32_e32 v18, v18, v235
	;; [unrolled: 1-line block ×3, first 2 shown]
	v_fmac_f32_e32 v185, -0.5, v14
	v_add_f32_e32 v18, v18, v243
	v_add_f32_e32 v209, v209, v206
	v_mov_b32_e32 v243, v185
	v_lshl_add_u32 v254, v20, 3, v21
	v_add_f32_e32 v7, v7, v253
	v_add_f32_e32 v209, v209, v207
	v_fmac_f32_e32 v243, 0x3f737871, v13
	v_sub_f32_e32 v10, v11, v10
	v_sub_f32_e32 v11, v206, v207
	v_fmac_f32_e32 v185, 0xbf737871, v13
	ds_write_b64 v254, v[202:203] offset:952
	ds_write_b64 v254, v[204:205] offset:1904
	;; [unrolled: 1-line block ×4, first 2 shown]
	ds_write2_b64 v255, v[186:187], v[6:7] offset1:17
	ds_write_b64 v254, v[4:5] offset:1088
	ds_write_b64 v254, v[210:211] offset:2040
	;; [unrolled: 1-line block ×4, first 2 shown]
	ds_write2_b64 v255, v[212:213], v[247:248] offset0:34 offset1:51
	ds_write2_b64 v255, v[216:217], v[233:234] offset0:153 offset1:170
	;; [unrolled: 1-line block ×8, first 2 shown]
	ds_write_b64 v255, v[208:209] offset:816
	v_lshlrev_b32_e32 v199, 3, v20
	v_add_f32_e32 v223, v223, v225
	v_fmac_f32_e32 v243, 0xbf167918, v12
	v_add_f32_e32 v10, v10, v11
	v_fmac_f32_e32 v185, 0x3f167918, v12
	v_add_u32_e32 v198, 0x400, v255
	v_add_co_u32_e64 v208, s[0:1], s4, v199
	v_mov_b32_e32 v8, s5
	v_fmac_f32_e32 v242, 0x3e9e377a, v223
	v_fmac_f32_e32 v184, 0x3e9e377a, v223
	;; [unrolled: 1-line block ×4, first 2 shown]
	ds_write2_b64 v198, v[238:239], v[218:219] offset0:93 offset1:144
	ds_write2_b64 v2, v[228:229], v[242:243] offset0:67 offset1:84
	;; [unrolled: 1-line block ×4, first 2 shown]
	s_waitcnt lgkmcnt(0)
	; wave barrier
	s_waitcnt lgkmcnt(0)
	v_addc_co_u32_e64 v209, s[0:1], 0, v8, s[0:1]
	global_load_dwordx2 v[8:9], v199, s[4:5]
	ds_read2_b64 v[4:7], v255 offset1:17
	ds_read2_b64 v[192:195], v255 offset0:68 offset1:85
	ds_read2_b64 v[188:191], v255 offset0:238 offset1:255
	;; [unrolled: 1-line block ×4, first 2 shown]
	buffer_store_dword v20, off, s[20:23], 0 offset:152 ; 4-byte Folded Spill
	s_waitcnt vmcnt(1) lgkmcnt(4)
	v_mul_f32_e32 v10, v5, v9
	v_mul_f32_e32 v17, v4, v9
	v_fma_f32 v16, v4, v8, -v10
	v_fmac_f32_e32 v17, v5, v8
	global_load_dwordx2 v[4:5], v199, s[4:5] offset:680
	s_waitcnt vmcnt(0) lgkmcnt(3)
	v_mul_f32_e32 v8, v195, v5
	v_mul_f32_e32 v197, v194, v5
	v_fma_f32 v196, v194, v4, -v8
	v_fmac_f32_e32 v197, v195, v4
	global_load_dwordx2 v[4:5], v199, s[4:5] offset:1360
	ds_read2_b64 v[8:11], v255 offset0:170 offset1:187
	s_waitcnt vmcnt(0) lgkmcnt(0)
	v_mul_f32_e32 v12, v9, v5
	v_mul_f32_e32 v19, v8, v5
	v_fma_f32 v18, v8, v4, -v12
	v_fmac_f32_e32 v19, v9, v4
	global_load_dwordx2 v[4:5], v199, s[4:5] offset:2040
	ds_read2_b64 v[12:15], v2 offset0:84 offset1:101
	s_waitcnt vmcnt(0)
	v_mul_f32_e32 v8, v191, v5
	v_mul_f32_e32 v195, v190, v5
	v_fma_f32 v194, v190, v4, -v8
	v_fmac_f32_e32 v195, v191, v4
	global_load_dwordx2 v[4:5], v199, s[4:5] offset:2720
	s_waitcnt vmcnt(0) lgkmcnt(0)
	v_mul_f32_e32 v8, v13, v5
	v_mul_f32_e32 v205, v12, v5
	v_fma_f32 v204, v12, v4, -v8
	v_fmac_f32_e32 v205, v13, v4
	global_load_dwordx2 v[4:5], v199, s[4:5] offset:3400
	s_waitcnt vmcnt(0)
	v_mul_f32_e32 v8, v187, v5
	v_mul_f32_e32 v191, v186, v5
	v_fma_f32 v190, v186, v4, -v8
	v_fmac_f32_e32 v191, v187, v4
	global_load_dwordx2 v[4:5], v199, s[4:5] offset:4080
	v_add_co_u32_e64 v186, s[0:1], s12, v208
	v_addc_co_u32_e64 v187, s[0:1], 0, v209, s[0:1]
	s_mov_b32 s0, 0xbf5ff5aa
	s_mov_b32 s1, 0xbf3bfb3b
	s_waitcnt vmcnt(0)
	v_mul_f32_e32 v8, v201, v5
	v_mul_f32_e32 v207, v200, v5
	v_fma_f32 v206, v200, v4, -v8
	v_fmac_f32_e32 v207, v201, v4
	global_load_dwordx2 v[4:5], v199, s[4:5] offset:136
	s_waitcnt vmcnt(0)
	v_mul_f32_e32 v8, v7, v5
	v_mul_f32_e32 v9, v6, v5
	v_fma_f32 v8, v6, v4, -v8
	v_fmac_f32_e32 v9, v7, v4
	ds_write2_b64 v255, v[16:17], v[8:9] offset1:17
	global_load_dwordx2 v[8:9], v199, s[4:5] offset:816
	ds_read2_b64 v[4:7], v255 offset0:102 offset1:119
	s_waitcnt vmcnt(0) lgkmcnt(0)
	v_mul_f32_e32 v12, v5, v9
	v_mul_f32_e32 v17, v4, v9
	v_fma_f32 v16, v4, v8, -v12
	v_fmac_f32_e32 v17, v5, v8
	global_load_dwordx2 v[4:5], v199, s[4:5] offset:1496
	s_waitcnt vmcnt(0)
	v_mul_f32_e32 v8, v11, v5
	v_mul_f32_e32 v9, v10, v5
	v_fma_f32 v8, v10, v4, -v8
	v_fmac_f32_e32 v9, v11, v4
	global_load_dwordx2 v[4:5], v199, s[4:5] offset:2176
	ds_write2_b64 v255, v[18:19], v[8:9] offset0:170 offset1:187
	ds_read2_b64 v[8:11], v2 offset0:16 offset1:33
	s_waitcnt vmcnt(0) lgkmcnt(0)
	v_mul_f32_e32 v12, v9, v5
	v_mul_f32_e32 v19, v8, v5
	v_fma_f32 v18, v8, v4, -v12
	v_fmac_f32_e32 v19, v9, v4
	global_load_dwordx2 v[4:5], v199, s[4:5] offset:2856
	s_waitcnt vmcnt(0)
	v_mul_f32_e32 v8, v15, v5
	v_mul_f32_e32 v9, v14, v5
	v_fma_f32 v8, v14, v4, -v8
	v_fmac_f32_e32 v9, v15, v4
	global_load_dwordx2 v[4:5], v199, s[4:5] offset:3536
	ds_read2_b64 v[12:15], v2 offset0:186 offset1:203
	ds_write2_b64 v2, v[204:205], v[8:9] offset0:84 offset1:101
	s_waitcnt vmcnt(0) lgkmcnt(1)
	v_mul_f32_e32 v8, v13, v5
	v_mul_f32_e32 v205, v12, v5
	v_fma_f32 v204, v12, v4, -v8
	v_fmac_f32_e32 v205, v13, v4
	global_load_dwordx2 v[4:5], v[186:187], off offset:120
	s_waitcnt vmcnt(0)
	v_mul_f32_e32 v8, v203, v5
	v_mul_f32_e32 v9, v202, v5
	v_fma_f32 v8, v202, v4, -v8
	v_fmac_f32_e32 v9, v203, v4
	global_load_dwordx2 v[4:5], v199, s[4:5] offset:272
	ds_read2_b64 v[200:203], v255 offset0:34 offset1:51
	ds_write2_b64 v224, v[206:207], v[8:9] offset0:126 offset1:143
	s_waitcnt vmcnt(0) lgkmcnt(1)
	v_mul_f32_e32 v8, v201, v5
	v_mul_f32_e32 v207, v200, v5
	v_fma_f32 v206, v200, v4, -v8
	v_fmac_f32_e32 v207, v201, v4
	global_load_dwordx2 v[4:5], v199, s[4:5] offset:952
	s_waitcnt vmcnt(0)
	v_mul_f32_e32 v8, v7, v5
	v_mul_f32_e32 v9, v6, v5
	v_fma_f32 v8, v6, v4, -v8
	v_fmac_f32_e32 v9, v7, v4
	ds_write2_b64 v255, v[16:17], v[8:9] offset0:102 offset1:119
	global_load_dwordx2 v[8:9], v199, s[4:5] offset:1632
	ds_read2_b64 v[4:7], v255 offset0:204 offset1:221
	s_waitcnt vmcnt(0) lgkmcnt(0)
	v_mul_f32_e32 v12, v5, v9
	v_mul_f32_e32 v17, v4, v9
	v_fma_f32 v16, v4, v8, -v12
	v_fmac_f32_e32 v17, v5, v8
	global_load_dwordx2 v[4:5], v199, s[4:5] offset:2312
	s_waitcnt vmcnt(0)
	v_mul_f32_e32 v8, v11, v5
	v_mul_f32_e32 v9, v10, v5
	v_fma_f32 v8, v10, v4, -v8
	v_fmac_f32_e32 v9, v11, v4
	global_load_dwordx2 v[4:5], v199, s[4:5] offset:2992
	ds_write2_b64 v2, v[18:19], v[8:9] offset0:16 offset1:33
	ds_read2_b64 v[8:11], v2 offset0:118 offset1:135
	s_waitcnt vmcnt(0) lgkmcnt(0)
	v_mul_f32_e32 v12, v9, v5
	v_mul_f32_e32 v19, v8, v5
	v_fma_f32 v18, v8, v4, -v12
	v_fmac_f32_e32 v19, v9, v4
	global_load_dwordx2 v[4:5], v199, s[4:5] offset:3672
	s_waitcnt vmcnt(0)
	v_mul_f32_e32 v8, v15, v5
	v_mul_f32_e32 v9, v14, v5
	v_fma_f32 v8, v14, v4, -v8
	v_fmac_f32_e32 v9, v15, v4
	buffer_load_dword v4, off, s[20:23], 0 offset:316 ; 4-byte Folded Reload
	ds_read2_b64 v[12:15], v3 offset0:32 offset1:49
	ds_write2_b64 v2, v[204:205], v[8:9] offset0:186 offset1:203
	s_waitcnt vmcnt(0)
	global_load_dwordx2 v[4:5], v4, s[4:5]
	s_waitcnt vmcnt(0) lgkmcnt(1)
	v_mul_f32_e32 v8, v13, v5
	v_mul_f32_e32 v205, v12, v5
	v_fma_f32 v204, v12, v4, -v8
	v_fmac_f32_e32 v205, v13, v4
	global_load_dwordx2 v[4:5], v199, s[4:5] offset:408
	s_waitcnt vmcnt(0)
	v_mul_f32_e32 v8, v203, v5
	v_mul_f32_e32 v9, v202, v5
	v_fma_f32 v8, v202, v4, -v8
	v_fmac_f32_e32 v9, v203, v4
	global_load_dwordx2 v[4:5], v199, s[4:5] offset:1088
	ds_read2_b64 v[200:203], v255 offset0:136 offset1:153
	ds_write2_b64 v255, v[206:207], v[8:9] offset0:34 offset1:51
	s_waitcnt vmcnt(0) lgkmcnt(1)
	v_mul_f32_e32 v8, v201, v5
	v_mul_f32_e32 v13, v200, v5
	v_fma_f32 v12, v200, v4, -v8
	v_fmac_f32_e32 v13, v201, v4
	global_load_dwordx2 v[4:5], v199, s[4:5] offset:1768
	s_waitcnt vmcnt(0)
	v_mul_f32_e32 v8, v7, v5
	v_mul_f32_e32 v9, v6, v5
	v_fma_f32 v8, v6, v4, -v8
	v_fmac_f32_e32 v9, v7, v4
	ds_write2_b64 v255, v[16:17], v[8:9] offset0:204 offset1:221
	global_load_dwordx2 v[8:9], v199, s[4:5] offset:2448
	ds_read2_b64 v[4:7], v2 offset0:50 offset1:67
	s_waitcnt vmcnt(0) lgkmcnt(0)
	v_mul_f32_e32 v16, v5, v9
	v_mul_f32_e32 v17, v4, v9
	v_fma_f32 v16, v4, v8, -v16
	v_fmac_f32_e32 v17, v5, v8
	global_load_dwordx2 v[4:5], v199, s[4:5] offset:3128
	s_waitcnt vmcnt(0)
	v_mul_f32_e32 v8, v11, v5
	v_mul_f32_e32 v9, v10, v5
	v_fma_f32 v8, v10, v4, -v8
	v_fmac_f32_e32 v9, v11, v4
	global_load_dwordx2 v[4:5], v199, s[4:5] offset:3808
	ds_write2_b64 v2, v[18:19], v[8:9] offset0:118 offset1:135
	ds_read2_b64 v[8:11], v2 offset0:220 offset1:237
	s_waitcnt vmcnt(0) lgkmcnt(0)
	v_mul_f32_e32 v18, v9, v5
	v_mul_f32_e32 v19, v8, v5
	v_fma_f32 v18, v8, v4, -v18
	v_fmac_f32_e32 v19, v9, v4
	global_load_dwordx2 v[4:5], v[186:187], off offset:392
	s_waitcnt vmcnt(0)
	v_mul_f32_e32 v8, v15, v5
	v_mul_f32_e32 v9, v14, v5
	v_fma_f32 v8, v14, v4, -v8
	v_fmac_f32_e32 v9, v15, v4
	global_load_dwordx2 v[4:5], v199, s[4:5] offset:544
	ds_write2_b64 v3, v[204:205], v[8:9] offset0:32 offset1:49
	s_waitcnt vmcnt(0)
	v_mul_f32_e32 v8, v193, v5
	v_mul_f32_e32 v9, v192, v5
	v_fma_f32 v8, v192, v4, -v8
	v_fmac_f32_e32 v9, v193, v4
	global_load_dwordx2 v[4:5], v199, s[4:5] offset:1224
	ds_write2_b64 v255, v[8:9], v[196:197] offset0:68 offset1:85
	;; [unrolled: 7-line block ×6, first 2 shown]
	s_waitcnt vmcnt(0)
	v_mul_f32_e32 v6, v11, v5
	v_mul_f32_e32 v7, v10, v5
	v_fma_f32 v6, v10, v4, -v6
	v_fmac_f32_e32 v7, v11, v4
	ds_write2_b64 v2, v[18:19], v[6:7] offset0:220 offset1:237
	global_load_dwordx2 v[6:7], v[186:187], off offset:528
	ds_read_b64 v[4:5], v255 offset:4624
	s_waitcnt vmcnt(0) lgkmcnt(0)
	v_mul_f32_e32 v8, v5, v7
	v_mul_f32_e32 v9, v4, v7
	v_fma_f32 v8, v4, v6, -v8
	v_fmac_f32_e32 v9, v5, v6
	ds_write_b64 v255, v[8:9] offset:4624
	s_waitcnt lgkmcnt(0)
	; wave barrier
	s_waitcnt lgkmcnt(0)
	ds_read2_b64 v[4:7], v255 offset1:17
	ds_read2_b64 v[8:11], v255 offset0:68 offset1:85
	ds_read2_b64 v[12:15], v255 offset0:170 offset1:187
	ds_read2_b64 v[184:187], v255 offset0:238 offset1:255
	ds_read2_b64 v[188:191], v2 offset0:84 offset1:101
	ds_read2_b64 v[192:195], v2 offset0:152 offset1:169
	ds_read2_b64 v[199:202], v224 offset0:126 offset1:143
	ds_read2_b64 v[203:206], v255 offset0:102 offset1:119
	ds_read2_b64 v[207:210], v2 offset0:16 offset1:33
	ds_read2_b64 v[211:214], v2 offset0:186 offset1:203
	ds_read2_b64 v[215:218], v255 offset0:34 offset1:51
	ds_read2_b64 v[219:222], v255 offset0:204 offset1:221
	ds_read2_b64 v[223:226], v2 offset0:118 offset1:135
	ds_read2_b64 v[227:230], v3 offset0:32 offset1:49
	ds_read2_b64 v[231:234], v255 offset0:136 offset1:153
	ds_read2_b64 v[235:238], v2 offset0:50 offset1:67
	ds_read2_b64 v[239:242], v2 offset0:220 offset1:237
	ds_read_b64 v[16:17], v255 offset:4624
	s_waitcnt lgkmcnt(0)
	; wave barrier
	s_waitcnt lgkmcnt(0)
	buffer_load_dword v20, off, s[20:23], 0 offset:296 ; 4-byte Folded Reload
	v_add_f32_e32 v18, v10, v199
	v_add_f32_e32 v196, v12, v194
	;; [unrolled: 1-line block ×4, first 2 shown]
	v_sub_f32_e32 v12, v12, v194
	v_add_f32_e32 v194, v186, v188
	v_sub_f32_e32 v186, v188, v186
	v_add_f32_e32 v188, v196, v18
	;; [unrolled: 2-line block ×4, first 2 shown]
	v_add_f32_e32 v188, v194, v188
	v_add_f32_e32 v189, v195, v189
	;; [unrolled: 1-line block ×3, first 2 shown]
	v_sub_f32_e32 v10, v10, v199
	v_sub_f32_e32 v11, v11, v200
	;; [unrolled: 1-line block ×8, first 2 shown]
	v_add_f32_e32 v243, v186, v12
	v_add_f32_e32 v244, v187, v13
	v_sub_f32_e32 v245, v186, v12
	v_sub_f32_e32 v246, v187, v13
	v_add_f32_e32 v5, v5, v189
	v_mov_b32_e32 v247, v4
	v_sub_f32_e32 v186, v10, v186
	v_sub_f32_e32 v187, v11, v187
	;; [unrolled: 1-line block ×4, first 2 shown]
	v_add_f32_e32 v10, v243, v10
	v_add_f32_e32 v11, v244, v11
	v_mul_f32_e32 v18, 0x3f4a47b2, v18
	v_mul_f32_e32 v19, 0x3f4a47b2, v19
	v_mul_f32_e32 v194, 0x3d64c772, v196
	v_mul_f32_e32 v195, 0x3d64c772, v197
	v_mul_f32_e32 v243, 0x3f08b237, v245
	v_mul_f32_e32 v244, 0x3f08b237, v246
	v_fmac_f32_e32 v247, 0xbf955555, v188
	v_mov_b32_e32 v188, v5
	v_mul_f32_e32 v245, 0xbf5ff5aa, v12
	v_mul_f32_e32 v246, 0xbf5ff5aa, v13
	v_fmac_f32_e32 v188, 0xbf955555, v189
	v_fma_f32 v189, v199, s2, -v194
	v_fma_f32 v194, v200, s2, -v195
	v_fma_f32 v195, v199, s1, -v18
	v_fmac_f32_e32 v18, 0x3d64c772, v196
	v_fma_f32 v196, v200, s1, -v19
	v_fmac_f32_e32 v19, 0x3d64c772, v197
	v_fma_f32 v197, v12, s0, -v243
	;; [unrolled: 2-line block ×4, first 2 shown]
	v_fma_f32 v245, v187, s3, -v246
	v_add_f32_e32 v246, v18, v247
	v_add_f32_e32 v248, v19, v188
	v_fmac_f32_e32 v243, 0xbee1c552, v10
	v_fmac_f32_e32 v244, 0xbee1c552, v11
	v_add_f32_e32 v186, v189, v247
	v_add_f32_e32 v187, v194, v188
	;; [unrolled: 1-line block ×4, first 2 shown]
	v_fmac_f32_e32 v197, 0xbee1c552, v10
	v_fmac_f32_e32 v199, 0xbee1c552, v11
	;; [unrolled: 1-line block ×4, first 2 shown]
	v_add_f32_e32 v10, v246, v244
	v_sub_f32_e32 v11, v248, v243
	v_add_f32_e32 v12, v245, v189
	v_sub_f32_e32 v13, v194, v200
	v_sub_f32_e32 v18, v186, v199
	v_add_f32_e32 v19, v197, v187
	v_add_f32_e32 v186, v199, v186
	v_sub_f32_e32 v187, v187, v197
	v_sub_f32_e32 v188, v189, v245
	v_add_f32_e32 v189, v200, v194
	v_sub_f32_e32 v194, v246, v244
	v_add_f32_e32 v195, v243, v248
	s_waitcnt vmcnt(0)
	ds_write2_b64 v20, v[4:5], v[10:11] offset1:1
	ds_write2_b64 v20, v[12:13], v[18:19] offset0:2 offset1:3
	ds_write2_b64 v20, v[186:187], v[188:189] offset0:4 offset1:5
	ds_write_b64 v20, v[194:195] offset:48
	buffer_load_dword v4, off, s[20:23], 0 offset:300 ; 4-byte Folded Reload
	v_add_f32_e32 v196, v203, v201
	v_sub_f32_e32 v199, v203, v201
	v_add_f32_e32 v201, v14, v211
	v_add_f32_e32 v197, v204, v202
	v_sub_f32_e32 v200, v204, v202
	v_add_f32_e32 v202, v15, v212
	;; [unrolled: 3-line block ×3, first 2 shown]
	v_sub_f32_e32 v14, v14, v211
	v_add_f32_e32 v204, v208, v191
	v_sub_f32_e32 v191, v191, v208
	v_add_f32_e32 v208, v202, v197
	v_sub_f32_e32 v211, v201, v196
	v_sub_f32_e32 v196, v196, v203
	;; [unrolled: 1-line block ×3, first 2 shown]
	v_add_f32_e32 v203, v203, v207
	v_sub_f32_e32 v15, v15, v212
	v_sub_f32_e32 v212, v202, v197
	;; [unrolled: 1-line block ×4, first 2 shown]
	v_add_f32_e32 v204, v204, v208
	v_add_f32_e32 v6, v6, v203
	;; [unrolled: 1-line block ×4, first 2 shown]
	v_sub_f32_e32 v245, v190, v14
	v_sub_f32_e32 v246, v191, v15
	v_add_f32_e32 v7, v7, v204
	v_mov_b32_e32 v247, v6
	v_sub_f32_e32 v190, v199, v190
	v_sub_f32_e32 v191, v200, v191
	;; [unrolled: 1-line block ×4, first 2 shown]
	v_add_f32_e32 v199, v243, v199
	v_add_f32_e32 v200, v244, v200
	v_mul_f32_e32 v196, 0x3f4a47b2, v196
	v_mul_f32_e32 v197, 0x3f4a47b2, v197
	;; [unrolled: 1-line block ×6, first 2 shown]
	v_fmac_f32_e32 v247, 0xbf955555, v203
	v_mov_b32_e32 v203, v7
	v_mul_f32_e32 v245, 0xbf5ff5aa, v14
	v_mul_f32_e32 v246, 0xbf5ff5aa, v15
	v_fmac_f32_e32 v203, 0xbf955555, v204
	v_fma_f32 v204, v211, s2, -v207
	v_fma_f32 v207, v212, s2, -v208
	;; [unrolled: 1-line block ×3, first 2 shown]
	v_fmac_f32_e32 v196, 0x3d64c772, v201
	v_fma_f32 v201, v212, s1, -v197
	v_fmac_f32_e32 v197, 0x3d64c772, v202
	v_fma_f32 v202, v14, s0, -v243
	;; [unrolled: 2-line block ×4, first 2 shown]
	v_fma_f32 v245, v191, s3, -v246
	v_add_f32_e32 v246, v196, v247
	v_add_f32_e32 v248, v197, v203
	v_fmac_f32_e32 v243, 0xbee1c552, v199
	v_fmac_f32_e32 v244, 0xbee1c552, v200
	v_add_f32_e32 v204, v204, v247
	v_add_f32_e32 v207, v207, v203
	;; [unrolled: 1-line block ×4, first 2 shown]
	v_fmac_f32_e32 v202, 0xbee1c552, v199
	v_fmac_f32_e32 v211, 0xbee1c552, v200
	;; [unrolled: 1-line block ×4, first 2 shown]
	v_add_f32_e32 v14, v246, v244
	v_sub_f32_e32 v15, v248, v243
	v_add_f32_e32 v190, v245, v208
	v_sub_f32_e32 v191, v203, v212
	v_sub_f32_e32 v196, v204, v211
	v_add_f32_e32 v197, v202, v207
	v_add_f32_e32 v199, v211, v204
	v_sub_f32_e32 v200, v207, v202
	v_sub_f32_e32 v201, v208, v245
	v_add_f32_e32 v202, v212, v203
	v_sub_f32_e32 v203, v246, v244
	v_add_f32_e32 v204, v243, v248
	s_waitcnt vmcnt(0)
	ds_write2_b64 v4, v[6:7], v[14:15] offset1:1
	ds_write2_b64 v4, v[190:191], v[196:197] offset0:2 offset1:3
	ds_write2_b64 v4, v[199:200], v[201:202] offset0:4 offset1:5
	ds_write_b64 v4, v[203:204] offset:48
	buffer_load_dword v4, off, s[20:23], 0 offset:304 ; 4-byte Folded Reload
	v_add_f32_e32 v207, v205, v227
	v_add_f32_e32 v211, v219, v213
	;; [unrolled: 1-line block ×4, first 2 shown]
	v_sub_f32_e32 v213, v219, v213
	v_add_f32_e32 v219, v209, v223
	v_sub_f32_e32 v209, v223, v209
	v_add_f32_e32 v223, v211, v207
	v_sub_f32_e32 v205, v205, v227
	v_sub_f32_e32 v214, v220, v214
	v_add_f32_e32 v220, v210, v224
	v_sub_f32_e32 v210, v224, v210
	v_add_f32_e32 v224, v212, v208
	v_sub_f32_e32 v227, v211, v207
	v_sub_f32_e32 v207, v207, v219
	;; [unrolled: 1-line block ×3, first 2 shown]
	v_add_f32_e32 v243, v209, v213
	v_add_f32_e32 v219, v219, v223
	v_sub_f32_e32 v206, v206, v228
	v_sub_f32_e32 v228, v212, v208
	v_sub_f32_e32 v208, v208, v220
	v_sub_f32_e32 v212, v220, v212
	v_add_f32_e32 v244, v210, v214
	v_sub_f32_e32 v245, v209, v213
	v_sub_f32_e32 v209, v205, v209
	;; [unrolled: 1-line block ×3, first 2 shown]
	v_add_f32_e32 v220, v220, v224
	v_add_f32_e32 v223, v243, v205
	;; [unrolled: 1-line block ×3, first 2 shown]
	v_sub_f32_e32 v246, v210, v214
	v_sub_f32_e32 v210, v206, v210
	;; [unrolled: 1-line block ×3, first 2 shown]
	v_add_f32_e32 v224, v244, v206
	v_add_f32_e32 v206, v216, v220
	v_mov_b32_e32 v247, v205
	v_mul_f32_e32 v207, 0x3f4a47b2, v207
	v_mul_f32_e32 v208, 0x3f4a47b2, v208
	;; [unrolled: 1-line block ×5, first 2 shown]
	v_fmac_f32_e32 v247, 0xbf955555, v219
	v_mov_b32_e32 v219, v206
	v_mul_f32_e32 v216, 0x3d64c772, v212
	v_mul_f32_e32 v245, 0xbf5ff5aa, v213
	;; [unrolled: 1-line block ×3, first 2 shown]
	v_fmac_f32_e32 v219, 0xbf955555, v220
	v_fma_f32 v215, v227, s2, -v215
	v_fma_f32 v220, v227, s1, -v207
	v_fmac_f32_e32 v207, 0x3d64c772, v211
	v_fma_f32 v211, v228, s1, -v208
	v_fmac_f32_e32 v208, 0x3d64c772, v212
	;; [unrolled: 2-line block ×4, first 2 shown]
	v_fma_f32 v216, v228, s2, -v216
	v_fma_f32 v228, v209, s3, -v245
	v_fma_f32 v245, v210, s3, -v246
	v_add_f32_e32 v246, v207, v247
	v_add_f32_e32 v248, v208, v219
	v_fmac_f32_e32 v243, 0xbee1c552, v223
	v_fmac_f32_e32 v244, 0xbee1c552, v224
	v_add_f32_e32 v214, v215, v247
	v_add_f32_e32 v215, v216, v219
	v_add_f32_e32 v216, v220, v247
	v_add_f32_e32 v219, v211, v219
	v_fmac_f32_e32 v227, 0xbee1c552, v223
	v_fmac_f32_e32 v213, 0xbee1c552, v224
	;; [unrolled: 1-line block ×4, first 2 shown]
	v_add_f32_e32 v207, v246, v244
	v_sub_f32_e32 v208, v248, v243
	v_add_f32_e32 v209, v245, v216
	v_sub_f32_e32 v210, v219, v228
	v_sub_f32_e32 v211, v214, v213
	v_add_f32_e32 v212, v227, v215
	v_add_f32_e32 v213, v213, v214
	v_sub_f32_e32 v214, v215, v227
	v_sub_f32_e32 v215, v216, v245
	v_add_f32_e32 v216, v228, v219
	v_sub_f32_e32 v219, v246, v244
	v_add_f32_e32 v220, v243, v248
	s_waitcnt vmcnt(0)
	ds_write2_b64 v4, v[205:206], v[207:208] offset1:1
	ds_write2_b64 v4, v[209:210], v[211:212] offset0:2 offset1:3
	ds_write2_b64 v4, v[213:214], v[215:216] offset0:4 offset1:5
	ds_write_b64 v4, v[219:220] offset:48
	buffer_load_dword v4, off, s[20:23], 0 offset:308 ; 4-byte Folded Reload
	v_add_f32_e32 v223, v231, v229
	v_sub_f32_e32 v227, v231, v229
	v_add_f32_e32 v229, v221, v239
	v_add_f32_e32 v224, v232, v230
	v_sub_f32_e32 v228, v232, v230
	v_add_f32_e32 v230, v222, v240
	;; [unrolled: 3-line block ×3, first 2 shown]
	v_sub_f32_e32 v221, v221, v239
	v_add_f32_e32 v232, v236, v226
	v_sub_f32_e32 v226, v226, v236
	v_add_f32_e32 v236, v230, v224
	v_sub_f32_e32 v239, v229, v223
	v_sub_f32_e32 v223, v223, v231
	;; [unrolled: 1-line block ×3, first 2 shown]
	v_add_f32_e32 v231, v231, v235
	v_sub_f32_e32 v222, v222, v240
	v_sub_f32_e32 v240, v230, v224
	;; [unrolled: 1-line block ×4, first 2 shown]
	v_add_f32_e32 v232, v232, v236
	v_add_f32_e32 v217, v217, v231
	;; [unrolled: 1-line block ×4, first 2 shown]
	v_sub_f32_e32 v245, v225, v221
	v_sub_f32_e32 v246, v226, v222
	v_add_f32_e32 v218, v218, v232
	v_mov_b32_e32 v247, v217
	v_sub_f32_e32 v225, v227, v225
	v_sub_f32_e32 v226, v228, v226
	;; [unrolled: 1-line block ×4, first 2 shown]
	v_add_f32_e32 v227, v243, v227
	v_add_f32_e32 v228, v244, v228
	v_mul_f32_e32 v223, 0x3f4a47b2, v223
	v_mul_f32_e32 v224, 0x3f4a47b2, v224
	;; [unrolled: 1-line block ×6, first 2 shown]
	v_fmac_f32_e32 v247, 0xbf955555, v231
	v_mov_b32_e32 v231, v218
	v_mul_f32_e32 v245, 0xbf5ff5aa, v221
	v_mul_f32_e32 v246, 0xbf5ff5aa, v222
	v_fmac_f32_e32 v231, 0xbf955555, v232
	v_fma_f32 v232, v239, s2, -v235
	v_fma_f32 v235, v240, s2, -v236
	v_fma_f32 v236, v239, s1, -v223
	v_fmac_f32_e32 v223, 0x3d64c772, v229
	v_fma_f32 v229, v240, s1, -v224
	v_fmac_f32_e32 v224, 0x3d64c772, v230
	v_fma_f32 v230, v221, s0, -v243
	;; [unrolled: 2-line block ×4, first 2 shown]
	v_fma_f32 v245, v226, s3, -v246
	v_add_f32_e32 v246, v223, v247
	v_add_f32_e32 v248, v224, v231
	v_fmac_f32_e32 v243, 0xbee1c552, v227
	v_fmac_f32_e32 v244, 0xbee1c552, v228
	v_add_f32_e32 v232, v232, v247
	v_add_f32_e32 v235, v235, v231
	;; [unrolled: 1-line block ×4, first 2 shown]
	v_fmac_f32_e32 v230, 0xbee1c552, v227
	v_fmac_f32_e32 v239, 0xbee1c552, v228
	;; [unrolled: 1-line block ×4, first 2 shown]
	v_add_f32_e32 v221, v246, v244
	v_sub_f32_e32 v222, v248, v243
	v_add_f32_e32 v223, v245, v236
	v_sub_f32_e32 v224, v231, v240
	v_sub_f32_e32 v225, v232, v239
	v_add_f32_e32 v226, v230, v235
	v_add_f32_e32 v227, v239, v232
	v_sub_f32_e32 v228, v235, v230
	v_sub_f32_e32 v229, v236, v245
	v_add_f32_e32 v230, v240, v231
	v_sub_f32_e32 v231, v246, v244
	v_add_f32_e32 v232, v243, v248
	s_waitcnt vmcnt(0)
	ds_write2_b64 v4, v[217:218], v[221:222] offset1:1
	ds_write2_b64 v4, v[223:224], v[225:226] offset0:2 offset1:3
	ds_write2_b64 v4, v[227:228], v[229:230] offset0:4 offset1:5
	ds_write_b64 v4, v[231:232] offset:48
	buffer_load_dword v4, off, s[20:23], 0 offset:312 ; 4-byte Folded Reload
	v_add_f32_e32 v235, v233, v16
	v_sub_f32_e32 v16, v233, v16
	v_add_f32_e32 v233, v184, v241
	v_add_f32_e32 v236, v234, v17
	v_sub_f32_e32 v17, v234, v17
	v_add_f32_e32 v234, v185, v242
	;; [unrolled: 3-line block ×4, first 2 shown]
	v_add_f32_e32 v237, v239, v237
	v_sub_f32_e32 v184, v184, v241
	v_sub_f32_e32 v185, v185, v242
	v_add_f32_e32 v238, v240, v238
	v_add_f32_e32 v8, v8, v237
	v_sub_f32_e32 v241, v233, v235
	v_sub_f32_e32 v242, v234, v236
	;; [unrolled: 1-line block ×6, first 2 shown]
	v_add_f32_e32 v243, v192, v184
	v_add_f32_e32 v244, v193, v185
	v_sub_f32_e32 v245, v192, v184
	v_sub_f32_e32 v246, v193, v185
	;; [unrolled: 1-line block ×4, first 2 shown]
	v_add_f32_e32 v9, v9, v238
	v_mov_b32_e32 v247, v8
	v_sub_f32_e32 v192, v16, v192
	v_sub_f32_e32 v193, v17, v193
	v_add_f32_e32 v16, v243, v16
	v_add_f32_e32 v17, v244, v17
	v_mul_f32_e32 v235, 0x3f4a47b2, v235
	v_mul_f32_e32 v236, 0x3f4a47b2, v236
	;; [unrolled: 1-line block ×8, first 2 shown]
	v_fmac_f32_e32 v247, 0xbf955555, v237
	v_mov_b32_e32 v237, v9
	v_fmac_f32_e32 v237, 0xbf955555, v238
	v_fma_f32 v238, v241, s2, -v239
	v_fma_f32 v239, v242, s2, -v240
	;; [unrolled: 1-line block ×3, first 2 shown]
	v_fmac_f32_e32 v235, 0x3d64c772, v233
	v_fma_f32 v233, v242, s1, -v236
	v_fmac_f32_e32 v236, 0x3d64c772, v234
	v_fma_f32 v234, v184, s0, -v243
	;; [unrolled: 2-line block ×4, first 2 shown]
	v_fma_f32 v245, v193, s3, -v246
	v_add_f32_e32 v246, v235, v247
	v_add_f32_e32 v248, v236, v237
	;; [unrolled: 1-line block ×6, first 2 shown]
	v_fmac_f32_e32 v243, 0xbee1c552, v16
	v_fmac_f32_e32 v244, 0xbee1c552, v17
	;; [unrolled: 1-line block ×6, first 2 shown]
	v_add_f32_e32 v16, v246, v244
	v_sub_f32_e32 v17, v248, v243
	v_add_f32_e32 v184, v245, v238
	v_sub_f32_e32 v185, v237, v242
	v_sub_f32_e32 v192, v235, v241
	v_add_f32_e32 v193, v234, v236
	v_add_f32_e32 v233, v241, v235
	v_sub_f32_e32 v234, v236, v234
	v_sub_f32_e32 v235, v238, v245
	v_add_f32_e32 v236, v242, v237
	v_sub_f32_e32 v252, v246, v244
	v_add_f32_e32 v253, v243, v248
	s_waitcnt vmcnt(0)
	ds_write2_b64 v4, v[8:9], v[16:17] offset1:1
	ds_write2_b64 v4, v[184:185], v[192:193] offset0:2 offset1:3
	ds_write2_b64 v4, v[233:234], v[235:236] offset0:4 offset1:5
	ds_write_b64 v4, v[252:253] offset:48
	s_waitcnt lgkmcnt(0)
	; wave barrier
	s_waitcnt lgkmcnt(0)
	ds_read2_b64 v[184:187], v255 offset1:17
	ds_read2_b64 v[248:251], v255 offset0:35 offset1:52
	ds_read2_b64 v[244:247], v255 offset0:70 offset1:87
	;; [unrolled: 1-line block ×16, first 2 shown]
	s_and_saveexec_b64 s[0:1], vcc
	s_cbranch_execz .LBB0_7
; %bb.6:
	v_add_u32_e32 v2, 0x800, v21
	ds_read_b64 v[252:253], v255 offset:272
	ds_read2_b64 v[120:123], v21 offset0:69 offset1:104
	ds_read2_b64 v[144:147], v21 offset0:139 offset1:174
	ds_read2_b64 v[168:171], v21 offset0:209 offset1:244
	ds_read2_b64 v[176:179], v2 offset0:23 offset1:58
	ds_read2_b64 v[180:183], v2 offset0:93 offset1:128
	ds_read2_b64 v[172:175], v2 offset0:163 offset1:198
	v_add_u32_e32 v2, 0xc00, v21
	ds_read2_b64 v[164:167], v2 offset0:105 offset1:140
	v_add_u32_e32 v2, 0x1000, v21
	ds_read2_b64 v[136:139], v2 offset0:47 offset1:82
.LBB0_7:
	s_or_b64 exec, exec, s[0:1]
	s_waitcnt lgkmcnt(14)
	v_mul_f32_e32 v2, v57, v248
	v_fma_f32 v9, v56, v249, -v2
	v_mul_f32_e32 v2, v59, v244
	v_fma_f32 v11, v58, v245, -v2
	s_waitcnt lgkmcnt(13)
	v_mul_f32_e32 v2, v49, v240
	v_fma_f32 v13, v48, v241, -v2
	s_waitcnt lgkmcnt(12)
	v_mul_f32_e32 v2, v51, v236
	v_fma_f32 v15, v50, v237, -v2
	s_waitcnt lgkmcnt(11)
	v_mul_f32_e32 v2, v41, v232
	v_fma_f32 v5, v40, v233, -v2
	s_waitcnt lgkmcnt(10)
	v_mul_f32_e32 v2, v43, v228
	v_mul_f32_e32 v14, v51, v237
	v_mul_f32_e32 v4, v41, v233
	v_fma_f32 v51, v42, v229, -v2
	s_waitcnt lgkmcnt(9)
	v_mul_f32_e32 v2, v33, v224
	v_fmac_f32_e32 v14, v50, v236
	v_fmac_f32_e32 v4, v40, v232
	v_mul_f32_e32 v50, v43, v229
	v_fma_f32 v43, v32, v225, -v2
	s_waitcnt lgkmcnt(8)
	v_mul_f32_e32 v40, v35, v221
	v_mul_f32_e32 v2, v35, v220
	v_fmac_f32_e32 v40, v34, v220
	v_fma_f32 v34, v34, v221, -v2
	s_waitcnt lgkmcnt(7)
	v_mul_f32_e32 v2, v61, v216
	v_mul_f32_e32 v8, v57, v249
	v_fma_f32 v41, v60, v217, -v2
	s_waitcnt lgkmcnt(6)
	v_mul_f32_e32 v2, v63, v212
	v_fmac_f32_e32 v8, v56, v248
	v_mul_f32_e32 v12, v49, v241
	v_fma_f32 v49, v62, v213, -v2
	s_waitcnt lgkmcnt(5)
	v_mul_f32_e32 v56, v53, v209
	v_mul_f32_e32 v2, v53, v208
	v_fmac_f32_e32 v56, v52, v208
	v_fma_f32 v52, v52, v209, -v2
	s_waitcnt lgkmcnt(4)
	v_mul_f32_e32 v2, v55, v204
	v_fma_f32 v7, v54, v205, -v2
	s_waitcnt lgkmcnt(3)
	v_mul_f32_e32 v2, v45, v200
	v_mul_f32_e32 v16, v45, v201
	v_fma_f32 v17, v44, v201, -v2
	s_waitcnt lgkmcnt(2)
	v_mul_f32_e32 v2, v47, v196
	v_fmac_f32_e32 v16, v44, v200
	v_fma_f32 v19, v46, v197, -v2
	s_waitcnt lgkmcnt(1)
	v_mul_f32_e32 v44, v37, v193
	v_mul_f32_e32 v2, v37, v192
	v_fmac_f32_e32 v44, v36, v192
	v_fma_f32 v36, v36, v193, -v2
	s_waitcnt lgkmcnt(0)
	v_mul_f32_e32 v37, v39, v189
	v_mul_f32_e32 v2, v39, v188
	v_fmac_f32_e32 v37, v38, v188
	v_fma_f32 v38, v38, v189, -v2
	v_mul_f32_e32 v2, v93, v250
	v_fma_f32 v192, v92, v251, -v2
	v_mul_f32_e32 v2, v95, v246
	v_mul_f32_e32 v189, v93, v251
	;; [unrolled: 1-line block ×3, first 2 shown]
	v_fma_f32 v95, v94, v247, -v2
	v_mul_f32_e32 v2, v89, v242
	v_fmac_f32_e32 v189, v92, v250
	v_fmac_f32_e32 v188, v94, v246
	v_fma_f32 v94, v88, v243, -v2
	v_mul_f32_e32 v92, v91, v239
	v_mul_f32_e32 v2, v91, v238
	;; [unrolled: 1-line block ×3, first 2 shown]
	v_fmac_f32_e32 v92, v90, v238
	v_fma_f32 v90, v90, v239, -v2
	v_mul_f32_e32 v2, v85, v234
	v_fmac_f32_e32 v93, v88, v242
	v_mul_f32_e32 v88, v85, v235
	v_fma_f32 v89, v84, v235, -v2
	v_mul_f32_e32 v85, v87, v231
	v_mul_f32_e32 v2, v87, v230
	v_fmac_f32_e32 v50, v42, v228
	v_mul_f32_e32 v42, v33, v225
	v_fmac_f32_e32 v88, v84, v234
	v_fmac_f32_e32 v85, v86, v230
	v_fma_f32 v86, v86, v231, -v2
	v_mul_f32_e32 v84, v81, v227
	v_mul_f32_e32 v2, v81, v226
	v_fmac_f32_e32 v42, v32, v224
	v_fmac_f32_e32 v84, v80, v226
	v_fma_f32 v81, v80, v227, -v2
	v_mul_f32_e32 v80, v77, v219
	v_mul_f32_e32 v32, v77, v218
	v_fmac_f32_e32 v80, v76, v218
	v_fma_f32 v76, v76, v219, -v32
	v_mul_f32_e32 v77, v79, v215
	v_mul_f32_e32 v32, v79, v214
	v_fmac_f32_e32 v77, v78, v214
	v_fma_f32 v78, v78, v215, -v32
	v_mul_f32_e32 v79, v73, v211
	v_mul_f32_e32 v32, v73, v210
	v_fmac_f32_e32 v79, v72, v210
	v_fma_f32 v72, v72, v211, -v32
	v_mul_f32_e32 v73, v75, v207
	v_mul_f32_e32 v32, v75, v206
	v_fmac_f32_e32 v73, v74, v206
	v_fma_f32 v74, v74, v207, -v32
	v_mul_f32_e32 v75, v69, v203
	v_mul_f32_e32 v32, v69, v202
	v_fmac_f32_e32 v75, v68, v202
	v_fma_f32 v68, v68, v203, -v32
	v_mul_f32_e32 v69, v71, v199
	v_mul_f32_e32 v32, v71, v198
	v_mul_f32_e32 v2, v83, v223
	v_mul_f32_e32 v3, v83, v222
	v_fmac_f32_e32 v69, v70, v198
	v_fma_f32 v70, v70, v199, -v32
	v_mul_f32_e32 v32, v65, v194
	v_mul_f32_e32 v10, v59, v245
	v_fmac_f32_e32 v2, v82, v222
	v_fma_f32 v3, v82, v223, -v3
	v_fma_f32 v82, v64, v195, -v32
	v_mul_f32_e32 v32, v67, v190
	v_fmac_f32_e32 v10, v58, v244
	v_fma_f32 v87, v66, v191, -v32
	v_add_f32_e32 v32, v184, v8
	v_fmac_f32_e32 v12, v48, v240
	v_add_f32_e32 v33, v185, v9
	v_add_f32_e32 v32, v32, v10
	;; [unrolled: 1-line block ×10, first 2 shown]
	v_mul_f32_e32 v35, v61, v217
	v_add_f32_e32 v33, v33, v51
	v_add_f32_e32 v32, v32, v42
	v_fmac_f32_e32 v35, v60, v216
	v_mul_f32_e32 v48, v63, v213
	v_add_f32_e32 v33, v33, v43
	v_add_f32_e32 v32, v32, v40
	v_fmac_f32_e32 v48, v62, v212
	v_add_f32_e32 v33, v33, v34
	v_add_f32_e32 v32, v32, v35
	v_mul_f32_e32 v6, v55, v205
	v_add_f32_e32 v33, v33, v41
	v_add_f32_e32 v32, v32, v48
	v_fmac_f32_e32 v6, v54, v204
	v_add_f32_e32 v33, v33, v49
	v_add_f32_e32 v32, v32, v56
	v_mul_f32_e32 v18, v47, v197
	v_add_f32_e32 v33, v33, v52
	v_add_f32_e32 v32, v32, v6
	v_fmac_f32_e32 v18, v46, v196
	v_mul_f32_e32 v71, v65, v195
	v_add_f32_e32 v33, v33, v7
	v_add_f32_e32 v32, v32, v16
	v_add_f32_e32 v45, v9, v38
	v_fmac_f32_e32 v71, v64, v194
	v_mul_f32_e32 v83, v67, v191
	v_add_f32_e32 v33, v33, v17
	v_add_f32_e32 v32, v32, v18
	;; [unrolled: 1-line block ×3, first 2 shown]
	v_sub_f32_e32 v8, v8, v37
	v_mul_f32_e32 v46, 0x3f6eb680, v45
	v_mul_f32_e32 v55, 0x3f3d2fb0, v45
	;; [unrolled: 1-line block ×8, first 2 shown]
	v_fmac_f32_e32 v83, v66, v190
	v_add_f32_e32 v33, v33, v19
	v_add_f32_e32 v32, v32, v44
	v_sub_f32_e32 v9, v9, v38
	v_mov_b32_e32 v47, v46
	v_mov_b32_e32 v57, v55
	;; [unrolled: 1-line block ×8, first 2 shown]
	v_fmac_f32_e32 v45, 0xbe3c28d5, v8
	v_add_f32_e32 v33, v33, v36
	v_add_f32_e32 v32, v32, v37
	v_mul_f32_e32 v37, 0xbeb8f4ab, v9
	v_fmac_f32_e32 v47, 0x3eb8f4ab, v8
	v_fmac_f32_e32 v46, 0xbeb8f4ab, v8
	v_mul_f32_e32 v53, 0xbf2c7751, v9
	v_fmac_f32_e32 v57, 0x3f2c7751, v8
	v_fmac_f32_e32 v55, 0xbf2c7751, v8
	;; [unrolled: 3-line block ×7, first 2 shown]
	v_mul_f32_e32 v9, 0xbe3c28d5, v9
	v_fmac_f32_e32 v201, 0x3e3c28d5, v8
	v_add_f32_e32 v8, v185, v45
	v_add_f32_e32 v45, v11, v36
	v_sub_f32_e32 v11, v11, v36
	v_add_f32_e32 v33, v33, v38
	s_mov_b32 s2, 0x3f6eb680
	v_mov_b32_e32 v38, v37
	s_mov_b32 s3, 0x3f3d2fb0
	v_mov_b32_e32 v54, v53
	;; [unrolled: 2-line block ×8, first 2 shown]
	v_mul_f32_e32 v36, 0xbf2c7751, v11
	v_fmac_f32_e32 v38, 0x3f6eb680, v39
	v_fma_f32 v37, v39, s2, -v37
	v_fmac_f32_e32 v54, 0x3f3d2fb0, v39
	v_fma_f32 v53, v39, s3, -v53
	;; [unrolled: 2-line block ×8, first 2 shown]
	v_add_f32_e32 v39, v10, v44
	v_sub_f32_e32 v10, v10, v44
	v_mov_b32_e32 v44, v36
	v_add_f32_e32 v38, v184, v38
	v_fmac_f32_e32 v44, 0x3f3d2fb0, v39
	v_add_f32_e32 v38, v44, v38
	v_mul_f32_e32 v44, 0x3f3d2fb0, v45
	v_add_f32_e32 v37, v184, v37
	v_add_f32_e32 v46, v185, v46
	;; [unrolled: 1-line block ×16, first 2 shown]
	v_mov_b32_e32 v184, v44
	v_fma_f32 v36, v39, s3, -v36
	v_fmac_f32_e32 v44, 0xbf2c7751, v10
	v_add_f32_e32 v36, v36, v37
	v_add_f32_e32 v37, v44, v46
	v_mul_f32_e32 v44, 0xbf7ee86f, v11
	v_mov_b32_e32 v46, v44
	v_fmac_f32_e32 v46, 0x3dbcf732, v39
	v_add_f32_e32 v47, v185, v47
	v_fmac_f32_e32 v184, 0x3f2c7751, v10
	v_add_f32_e32 v46, v46, v54
	v_mul_f32_e32 v54, 0x3dbcf732, v45
	v_add_f32_e32 v55, v185, v55
	v_add_f32_e32 v47, v184, v47
	v_mov_b32_e32 v184, v54
	v_fma_f32 v44, v39, s5, -v44
	v_fmac_f32_e32 v54, 0xbf7ee86f, v10
	v_add_f32_e32 v44, v44, v53
	v_add_f32_e32 v53, v54, v55
	v_mul_f32_e32 v54, 0xbf4c4adb, v11
	v_mov_b32_e32 v55, v54
	v_fmac_f32_e32 v55, 0xbf1a4643, v39
	v_add_f32_e32 v57, v185, v57
	v_fmac_f32_e32 v184, 0x3f7ee86f, v10
	v_add_f32_e32 v55, v55, v59
	v_mul_f32_e32 v59, 0xbf1a4643, v45
	v_add_f32_e32 v60, v185, v60
	v_add_f32_e32 v57, v184, v57
	;; [unrolled: 14-line block ×4, first 2 shown]
	v_mov_b32_e32 v184, v67
	v_fma_f32 v63, v39, s14, -v63
	v_fmac_f32_e32 v67, 0x3f06c442, v10
	v_add_f32_e32 v63, v63, v66
	v_add_f32_e32 v66, v67, v91
	v_mul_f32_e32 v67, 0x3f763a35, v11
	v_mov_b32_e32 v91, v67
	v_fma_f32 v67, v39, s12, -v67
	v_add_f32_e32 v190, v185, v190
	v_add_f32_e32 v195, v185, v195
	;; [unrolled: 1-line block ×6, first 2 shown]
	v_fmac_f32_e32 v184, 0xbf06c442, v10
	v_fmac_f32_e32 v91, 0xbe8c1d8e, v39
	v_mul_f32_e32 v185, 0xbe8c1d8e, v45
	v_add_f32_e32 v67, v67, v191
	v_mul_f32_e32 v191, 0x3f65296c, v11
	v_add_f32_e32 v184, v184, v190
	v_add_f32_e32 v91, v91, v193
	v_mov_b32_e32 v190, v185
	v_fmac_f32_e32 v185, 0x3f763a35, v10
	v_mov_b32_e32 v193, v191
	v_fma_f32 v191, v39, s4, -v191
	v_mul_f32_e32 v11, 0x3eb8f4ab, v11
	v_fmac_f32_e32 v190, 0xbf763a35, v10
	v_add_f32_e32 v185, v185, v194
	v_fmac_f32_e32 v193, 0x3ee437d1, v39
	v_mul_f32_e32 v194, 0x3ee437d1, v45
	v_add_f32_e32 v191, v191, v196
	v_mov_b32_e32 v196, v11
	v_mul_f32_e32 v45, 0x3f6eb680, v45
	v_fma_f32 v11, v39, s2, -v11
	v_add_f32_e32 v190, v190, v195
	v_add_f32_e32 v193, v193, v197
	v_mov_b32_e32 v195, v194
	v_mov_b32_e32 v197, v45
	v_add_f32_e32 v9, v11, v9
	v_add_f32_e32 v11, v13, v19
	v_sub_f32_e32 v13, v13, v19
	v_fmac_f32_e32 v195, 0xbf65296c, v10
	v_fmac_f32_e32 v194, 0x3f65296c, v10
	v_fmac_f32_e32 v197, 0xbeb8f4ab, v10
	v_fmac_f32_e32 v45, 0x3eb8f4ab, v10
	v_add_f32_e32 v10, v12, v18
	v_sub_f32_e32 v12, v12, v18
	v_mul_f32_e32 v18, 0xbf65296c, v13
	v_mov_b32_e32 v19, v18
	v_fmac_f32_e32 v19, 0x3ee437d1, v10
	v_add_f32_e32 v19, v19, v38
	v_mul_f32_e32 v38, 0x3ee437d1, v11
	v_fmac_f32_e32 v196, 0x3f6eb680, v39
	v_mov_b32_e32 v39, v38
	v_fma_f32 v18, v10, s4, -v18
	v_fmac_f32_e32 v38, 0xbf65296c, v12
	v_add_f32_e32 v18, v18, v36
	v_add_f32_e32 v36, v38, v37
	v_mul_f32_e32 v37, 0xbf4c4adb, v13
	v_mov_b32_e32 v38, v37
	v_add_f32_e32 v8, v45, v8
	v_fmac_f32_e32 v38, 0xbf1a4643, v10
	v_mul_f32_e32 v45, 0xbf1a4643, v11
	v_add_f32_e32 v38, v38, v46
	v_mov_b32_e32 v46, v45
	v_fma_f32 v37, v10, s13, -v37
	v_fmac_f32_e32 v45, 0xbf4c4adb, v12
	v_fmac_f32_e32 v39, 0x3f65296c, v12
	v_add_f32_e32 v37, v37, v44
	v_add_f32_e32 v44, v45, v53
	v_mul_f32_e32 v45, 0x3e3c28d5, v13
	v_add_f32_e32 v39, v39, v47
	v_mov_b32_e32 v47, v45
	v_fma_f32 v45, v10, s15, -v45
	v_fmac_f32_e32 v46, 0x3f4c4adb, v12
	v_fmac_f32_e32 v47, 0xbf7ba420, v10
	v_mul_f32_e32 v53, 0xbf7ba420, v11
	v_add_f32_e32 v45, v45, v54
	v_mul_f32_e32 v54, 0x3f763a35, v13
	v_add_f32_e32 v46, v46, v57
	v_add_f32_e32 v47, v47, v55
	v_mov_b32_e32 v55, v53
	v_fmac_f32_e32 v53, 0x3e3c28d5, v12
	v_mov_b32_e32 v57, v54
	v_fma_f32 v54, v10, s12, -v54
	v_fmac_f32_e32 v55, 0xbe3c28d5, v12
	v_add_f32_e32 v53, v53, v58
	v_fmac_f32_e32 v57, 0xbe8c1d8e, v10
	v_mul_f32_e32 v58, 0xbe8c1d8e, v11
	v_add_f32_e32 v54, v54, v59
	v_mul_f32_e32 v59, 0x3f2c7751, v13
	v_add_f32_e32 v55, v55, v61
	v_add_f32_e32 v57, v57, v60
	v_mov_b32_e32 v60, v58
	v_fmac_f32_e32 v58, 0x3f763a35, v12
	v_mov_b32_e32 v61, v59
	v_fma_f32 v59, v10, s3, -v59
	v_fmac_f32_e32 v60, 0xbf763a35, v12
	v_add_f32_e32 v58, v58, v62
	;; [unrolled: 12-line block ×3, first 2 shown]
	v_fmac_f32_e32 v65, 0x3f6eb680, v10
	v_mul_f32_e32 v66, 0x3f6eb680, v11
	v_add_f32_e32 v63, v63, v67
	v_mul_f32_e32 v67, 0xbf7ee86f, v13
	v_add_f32_e32 v64, v64, v184
	v_add_f32_e32 v65, v65, v91
	v_mov_b32_e32 v91, v66
	v_fmac_f32_e32 v66, 0xbeb8f4ab, v12
	v_mov_b32_e32 v184, v67
	v_fma_f32 v67, v10, s5, -v67
	v_mul_f32_e32 v13, 0xbf06c442, v13
	v_fmac_f32_e32 v91, 0x3eb8f4ab, v12
	v_add_f32_e32 v66, v66, v185
	v_fmac_f32_e32 v184, 0x3dbcf732, v10
	v_mul_f32_e32 v185, 0x3dbcf732, v11
	v_add_f32_e32 v67, v67, v191
	v_mov_b32_e32 v191, v13
	v_mul_f32_e32 v11, 0xbf59a7d5, v11
	v_add_f32_e32 v91, v91, v190
	v_add_f32_e32 v184, v184, v193
	v_mov_b32_e32 v190, v185
	v_fmac_f32_e32 v191, 0xbf59a7d5, v10
	v_mov_b32_e32 v193, v11
	v_fma_f32 v10, v10, s14, -v13
	v_sub_f32_e32 v13, v15, v17
	v_fmac_f32_e32 v190, 0x3f7ee86f, v12
	v_fmac_f32_e32 v185, 0xbf7ee86f, v12
	;; [unrolled: 1-line block ×3, first 2 shown]
	v_add_f32_e32 v9, v10, v9
	v_fmac_f32_e32 v11, 0xbf06c442, v12
	v_add_f32_e32 v10, v14, v16
	v_sub_f32_e32 v12, v14, v16
	v_mul_f32_e32 v14, 0xbf7ee86f, v13
	v_add_f32_e32 v8, v11, v8
	v_add_f32_e32 v11, v15, v17
	v_mov_b32_e32 v15, v14
	v_fma_f32 v14, v10, s5, -v14
	v_fmac_f32_e32 v15, 0x3dbcf732, v10
	v_mul_f32_e32 v16, 0x3dbcf732, v11
	v_add_f32_e32 v14, v14, v18
	v_mul_f32_e32 v18, 0xbe3c28d5, v13
	v_add_f32_e32 v15, v15, v19
	v_mov_b32_e32 v17, v16
	v_fmac_f32_e32 v16, 0xbf7ee86f, v12
	v_mov_b32_e32 v19, v18
	v_fma_f32 v18, v10, s15, -v18
	v_fmac_f32_e32 v17, 0x3f7ee86f, v12
	v_add_f32_e32 v16, v16, v36
	v_fmac_f32_e32 v19, 0xbf7ba420, v10
	v_mul_f32_e32 v36, 0xbf7ba420, v11
	v_add_f32_e32 v18, v18, v37
	v_mul_f32_e32 v37, 0x3f763a35, v13
	v_add_f32_e32 v17, v17, v39
	v_add_f32_e32 v19, v19, v38
	v_mov_b32_e32 v38, v36
	v_fmac_f32_e32 v36, 0xbe3c28d5, v12
	v_mov_b32_e32 v39, v37
	v_fma_f32 v37, v10, s12, -v37
	v_fmac_f32_e32 v38, 0x3e3c28d5, v12
	v_add_f32_e32 v36, v36, v44
	v_fmac_f32_e32 v39, 0xbe8c1d8e, v10
	v_mul_f32_e32 v44, 0xbe8c1d8e, v11
	v_add_f32_e32 v37, v37, v45
	v_mul_f32_e32 v45, 0x3eb8f4ab, v13
	v_add_f32_e32 v38, v38, v46
	;; [unrolled: 12-line block ×5, first 2 shown]
	v_add_f32_e32 v61, v61, v65
	v_mov_b32_e32 v64, v62
	v_fmac_f32_e32 v62, 0xbf06c442, v12
	v_mov_b32_e32 v65, v63
	v_add_f32_e32 v62, v62, v66
	v_fmac_f32_e32 v65, 0xbf1a4643, v10
	v_mul_f32_e32 v66, 0xbf1a4643, v11
	v_fma_f32 v63, v10, s13, -v63
	v_mul_f32_e32 v13, 0x3f2c7751, v13
	v_mul_f32_e32 v11, 0x3f3d2fb0, v11
	v_add_f32_e32 v65, v65, v184
	v_add_f32_e32 v63, v63, v67
	v_mov_b32_e32 v67, v13
	v_mov_b32_e32 v184, v11
	v_fmac_f32_e32 v11, 0x3f2c7751, v12
	v_fmac_f32_e32 v67, 0x3f3d2fb0, v10
	v_fma_f32 v10, v10, s3, -v13
	v_add_f32_e32 v8, v11, v8
	v_add_f32_e32 v11, v5, v7
	v_sub_f32_e32 v5, v5, v7
	v_fmac_f32_e32 v64, 0x3f06c442, v12
	v_add_f32_e32 v9, v10, v9
	v_add_f32_e32 v10, v4, v6
	v_sub_f32_e32 v4, v4, v6
	v_mul_f32_e32 v6, 0xbf763a35, v5
	v_add_f32_e32 v64, v64, v91
	v_mov_b32_e32 v91, v66
	v_mov_b32_e32 v7, v6
	v_fma_f32 v6, v10, s12, -v6
	v_fmac_f32_e32 v91, 0xbf4c4adb, v12
	v_fmac_f32_e32 v66, 0x3f4c4adb, v12
	;; [unrolled: 1-line block ×4, first 2 shown]
	v_mul_f32_e32 v12, 0xbe8c1d8e, v11
	v_add_f32_e32 v6, v6, v14
	v_mul_f32_e32 v14, 0x3f06c442, v5
	v_add_f32_e32 v7, v7, v15
	v_mov_b32_e32 v13, v12
	v_fmac_f32_e32 v12, 0xbf763a35, v4
	v_mov_b32_e32 v15, v14
	v_fma_f32 v14, v10, s14, -v14
	v_fmac_f32_e32 v13, 0x3f763a35, v4
	v_add_f32_e32 v12, v12, v16
	v_fmac_f32_e32 v15, 0xbf59a7d5, v10
	v_mul_f32_e32 v16, 0xbf59a7d5, v11
	v_add_f32_e32 v14, v14, v18
	v_mul_f32_e32 v18, 0x3f2c7751, v5
	v_add_f32_e32 v13, v13, v17
	v_add_f32_e32 v15, v15, v19
	v_mov_b32_e32 v17, v16
	v_fmac_f32_e32 v16, 0x3f06c442, v4
	v_mov_b32_e32 v19, v18
	v_fma_f32 v18, v10, s3, -v18
	v_fmac_f32_e32 v17, 0xbf06c442, v4
	v_add_f32_e32 v16, v16, v36
	v_fmac_f32_e32 v19, 0x3f3d2fb0, v10
	v_mul_f32_e32 v36, 0x3f3d2fb0, v11
	v_add_f32_e32 v18, v18, v37
	v_mul_f32_e32 v37, 0xbf65296c, v5
	v_add_f32_e32 v17, v17, v38
	;; [unrolled: 12-line block ×5, first 2 shown]
	v_add_f32_e32 v57, v57, v61
	v_mov_b32_e32 v60, v58
	v_fmac_f32_e32 v58, 0x3f7ee86f, v4
	v_mov_b32_e32 v61, v59
	v_fmac_f32_e32 v60, 0xbf7ee86f, v4
	v_add_f32_e32 v58, v58, v62
	v_fmac_f32_e32 v61, 0x3f6eb680, v10
	v_mul_f32_e32 v62, 0x3f6eb680, v11
	v_mul_f32_e32 v11, 0xbf1a4643, v11
	v_add_f32_e32 v60, v60, v64
	v_add_f32_e32 v61, v61, v65
	v_mov_b32_e32 v64, v62
	v_fma_f32 v59, v10, s2, -v59
	v_mul_f32_e32 v5, 0xbf4c4adb, v5
	v_mov_b32_e32 v65, v11
	v_fmac_f32_e32 v11, 0xbf4c4adb, v4
	v_fmac_f32_e32 v64, 0x3eb8f4ab, v4
	v_add_f32_e32 v59, v59, v63
	v_fmac_f32_e32 v62, 0xbeb8f4ab, v4
	v_mov_b32_e32 v63, v5
	v_fmac_f32_e32 v65, 0x3f4c4adb, v4
	v_add_f32_e32 v4, v11, v8
	v_sub_f32_e32 v11, v51, v52
	v_fmac_f32_e32 v63, 0xbf1a4643, v10
	v_fma_f32 v5, v10, s13, -v5
	v_add_f32_e32 v8, v50, v56
	v_sub_f32_e32 v10, v50, v56
	v_mul_f32_e32 v50, 0xbf4c4adb, v11
	v_add_f32_e32 v5, v5, v9
	v_add_f32_e32 v9, v51, v52
	v_mov_b32_e32 v51, v50
	v_fmac_f32_e32 v51, 0xbf1a4643, v8
	v_add_f32_e32 v7, v51, v7
	v_mul_f32_e32 v51, 0xbf1a4643, v9
	v_fma_f32 v50, v8, s13, -v50
	v_mov_b32_e32 v52, v51
	v_add_f32_e32 v6, v50, v6
	v_fmac_f32_e32 v51, 0xbf4c4adb, v10
	v_mul_f32_e32 v50, 0x3f763a35, v11
	v_add_f32_e32 v12, v51, v12
	v_mov_b32_e32 v51, v50
	v_fmac_f32_e32 v51, 0xbe8c1d8e, v8
	v_fmac_f32_e32 v52, 0x3f4c4adb, v10
	v_add_f32_e32 v15, v51, v15
	v_mul_f32_e32 v51, 0xbe8c1d8e, v9
	v_fma_f32 v50, v8, s12, -v50
	v_add_f32_e32 v13, v52, v13
	v_mov_b32_e32 v52, v51
	v_add_f32_e32 v14, v50, v14
	v_fmac_f32_e32 v51, 0x3f763a35, v10
	v_mul_f32_e32 v50, 0xbeb8f4ab, v11
	v_add_f32_e32 v16, v51, v16
	v_mov_b32_e32 v51, v50
	v_fmac_f32_e32 v51, 0x3f6eb680, v8
	v_fmac_f32_e32 v52, 0xbf763a35, v10
	v_add_f32_e32 v19, v51, v19
	v_mul_f32_e32 v51, 0x3f6eb680, v9
	v_fma_f32 v50, v8, s2, -v50
	v_add_f32_e32 v17, v52, v17
	;; [unrolled: 12-line block ×3, first 2 shown]
	v_mov_b32_e32 v52, v51
	v_add_f32_e32 v37, v50, v37
	v_fmac_f32_e32 v51, 0xbf06c442, v10
	v_mul_f32_e32 v50, 0x3f7ee86f, v11
	v_add_f32_e32 v44, v51, v44
	v_mov_b32_e32 v51, v50
	v_fmac_f32_e32 v51, 0x3dbcf732, v8
	v_fmac_f32_e32 v52, 0x3f06c442, v10
	v_add_f32_e32 v47, v51, v47
	v_mul_f32_e32 v51, 0x3dbcf732, v9
	v_add_f32_e32 v46, v52, v46
	v_mov_b32_e32 v52, v51
	v_fmac_f32_e32 v52, 0xbf7ee86f, v10
	v_fma_f32 v50, v8, s5, -v50
	v_fmac_f32_e32 v51, 0x3f7ee86f, v10
	v_add_f32_e32 v52, v52, v55
	v_add_f32_e32 v45, v50, v45
	;; [unrolled: 1-line block ×3, first 2 shown]
	v_mul_f32_e32 v51, 0xbf2c7751, v11
	v_mul_f32_e32 v55, 0x3f3d2fb0, v9
	v_mov_b32_e32 v53, v51
	v_mov_b32_e32 v56, v55
	v_fma_f32 v51, v8, s3, -v51
	v_fmac_f32_e32 v55, 0xbf2c7751, v10
	v_fmac_f32_e32 v53, 0x3f3d2fb0, v8
	v_add_f32_e32 v51, v51, v54
	v_add_f32_e32 v54, v55, v58
	v_mul_f32_e32 v55, 0xbe3c28d5, v11
	v_add_f32_e32 v53, v53, v57
	v_mov_b32_e32 v57, v55
	v_fma_f32 v55, v8, s15, -v55
	v_mul_f32_e32 v11, 0x3f65296c, v11
	v_fmac_f32_e32 v56, 0x3f2c7751, v10
	v_fmac_f32_e32 v57, 0xbf7ba420, v8
	v_mul_f32_e32 v58, 0xbf7ba420, v9
	v_add_f32_e32 v55, v55, v59
	v_mov_b32_e32 v59, v11
	v_mul_f32_e32 v9, 0x3ee437d1, v9
	v_add_f32_e32 v56, v56, v60
	v_add_f32_e32 v57, v57, v61
	v_mov_b32_e32 v60, v58
	v_fmac_f32_e32 v59, 0x3ee437d1, v8
	v_mov_b32_e32 v61, v9
	v_fma_f32 v8, v8, s4, -v11
	v_sub_f32_e32 v11, v43, v49
	v_fmac_f32_e32 v60, 0x3e3c28d5, v10
	v_fmac_f32_e32 v58, 0xbe3c28d5, v10
	;; [unrolled: 1-line block ×3, first 2 shown]
	v_add_f32_e32 v5, v8, v5
	v_fmac_f32_e32 v9, 0x3f65296c, v10
	v_add_f32_e32 v8, v42, v48
	v_sub_f32_e32 v10, v42, v48
	v_mul_f32_e32 v42, 0xbf06c442, v11
	v_add_f32_e32 v4, v9, v4
	v_add_f32_e32 v9, v43, v49
	v_mov_b32_e32 v43, v42
	v_fmac_f32_e32 v43, 0xbf59a7d5, v8
	v_add_f32_e32 v7, v43, v7
	v_mul_f32_e32 v43, 0xbf59a7d5, v9
	v_fma_f32 v42, v8, s14, -v42
	v_mov_b32_e32 v48, v43
	v_add_f32_e32 v6, v42, v6
	v_fmac_f32_e32 v43, 0xbf06c442, v10
	v_mul_f32_e32 v42, 0x3f65296c, v11
	v_add_f32_e32 v12, v43, v12
	v_mov_b32_e32 v43, v42
	v_fmac_f32_e32 v43, 0x3ee437d1, v8
	v_fmac_f32_e32 v48, 0x3f06c442, v10
	v_add_f32_e32 v15, v43, v15
	v_mul_f32_e32 v43, 0x3ee437d1, v9
	v_fma_f32 v42, v8, s4, -v42
	v_add_f32_e32 v13, v48, v13
	v_mov_b32_e32 v48, v43
	v_add_f32_e32 v14, v42, v14
	v_fmac_f32_e32 v43, 0x3f65296c, v10
	v_mul_f32_e32 v42, 0xbf7ee86f, v11
	v_add_f32_e32 v16, v43, v16
	v_mov_b32_e32 v43, v42
	v_fmac_f32_e32 v43, 0x3dbcf732, v8
	v_fmac_f32_e32 v48, 0xbf65296c, v10
	v_add_f32_e32 v19, v43, v19
	v_mul_f32_e32 v43, 0x3dbcf732, v9
	v_add_f32_e32 v196, v196, v200
	v_add_f32_e32 v17, v48, v17
	v_mov_b32_e32 v48, v43
	v_add_f32_e32 v191, v191, v196
	v_fmac_f32_e32 v48, 0x3f7ee86f, v10
	v_fmac_f32_e32 v43, 0xbf7ee86f, v10
	v_add_f32_e32 v67, v67, v191
	v_add_f32_e32 v38, v48, v38
	v_fma_f32 v42, v8, s5, -v42
	v_add_f32_e32 v48, v43, v36
	v_mul_f32_e32 v36, 0x3f4c4adb, v11
	v_add_f32_e32 v197, v197, v201
	v_add_f32_e32 v63, v63, v67
	;; [unrolled: 1-line block ×3, first 2 shown]
	v_mov_b32_e32 v42, v36
	v_fma_f32 v36, v8, s13, -v36
	v_add_f32_e32 v195, v195, v199
	v_add_f32_e32 v193, v193, v197
	v_add_f32_e32 v59, v59, v63
	v_add_f32_e32 v63, v36, v37
	v_mul_f32_e32 v36, 0xbeb8f4ab, v11
	v_add_f32_e32 v190, v190, v195
	v_add_f32_e32 v184, v184, v193
	v_fmac_f32_e32 v42, 0xbf1a4643, v8
	v_mov_b32_e32 v37, v36
	v_add_f32_e32 v91, v91, v190
	v_add_f32_e32 v65, v65, v184
	;; [unrolled: 1-line block ×3, first 2 shown]
	v_mul_f32_e32 v39, 0xbf1a4643, v9
	v_fmac_f32_e32 v37, 0x3f6eb680, v8
	v_add_f32_e32 v64, v64, v91
	v_add_f32_e32 v61, v61, v65
	v_mov_b32_e32 v42, v39
	v_fmac_f32_e32 v39, 0x3f4c4adb, v10
	v_add_f32_e32 v65, v37, v47
	v_mul_f32_e32 v37, 0x3f6eb680, v9
	v_fma_f32 v36, v8, s2, -v36
	v_add_f32_e32 v60, v60, v64
	v_add_f32_e32 v64, v39, v44
	v_mov_b32_e32 v39, v37
	v_add_f32_e32 v67, v36, v45
	v_fmac_f32_e32 v37, 0xbeb8f4ab, v10
	v_mul_f32_e32 v36, 0xbe3c28d5, v11
	v_add_f32_e32 v194, v194, v198
	v_add_f32_e32 v91, v37, v50
	v_mov_b32_e32 v37, v36
	v_add_f32_e32 v185, v185, v194
	v_fmac_f32_e32 v37, 0xbf7ba420, v8
	v_add_f32_e32 v66, v66, v185
	v_fmac_f32_e32 v39, 0x3eb8f4ab, v10
	v_add_f32_e32 v184, v37, v53
	v_mul_f32_e32 v37, 0xbf7ba420, v9
	v_fma_f32 v36, v8, s15, -v36
	v_add_f32_e32 v62, v62, v66
	v_add_f32_e32 v66, v39, v52
	v_mov_b32_e32 v39, v37
	v_add_f32_e32 v190, v36, v51
	v_fmac_f32_e32 v37, 0xbe3c28d5, v10
	v_mul_f32_e32 v36, 0x3f2c7751, v11
	v_add_f32_e32 v191, v37, v54
	v_mov_b32_e32 v37, v36
	v_fma_f32 v36, v8, s3, -v36
	v_mul_f32_e32 v11, 0xbf763a35, v11
	v_fmac_f32_e32 v37, 0x3f3d2fb0, v8
	v_add_f32_e32 v195, v36, v55
	v_mov_b32_e32 v36, v11
	v_add_f32_e32 v193, v37, v57
	v_mul_f32_e32 v37, 0x3f3d2fb0, v9
	v_fmac_f32_e32 v36, 0xbe8c1d8e, v8
	v_mul_f32_e32 v9, 0xbe8c1d8e, v9
	v_fmac_f32_e32 v39, 0x3e3c28d5, v10
	v_add_f32_e32 v197, v36, v59
	v_mov_b32_e32 v36, v9
	v_fma_f32 v8, v8, s12, -v11
	v_fmac_f32_e32 v9, 0xbf763a35, v10
	v_sub_f32_e32 v11, v34, v41
	v_add_f32_e32 v185, v39, v56
	v_mov_b32_e32 v39, v37
	v_add_f32_e32 v4, v9, v4
	v_add_f32_e32 v9, v34, v41
	v_mul_f32_e32 v34, 0xbe3c28d5, v11
	v_fmac_f32_e32 v42, 0xbf4c4adb, v10
	v_fmac_f32_e32 v39, 0xbf2c7751, v10
	;; [unrolled: 1-line block ×4, first 2 shown]
	v_add_f32_e32 v5, v8, v5
	v_add_f32_e32 v8, v40, v35
	v_sub_f32_e32 v10, v40, v35
	v_mov_b32_e32 v35, v34
	v_fmac_f32_e32 v35, 0xbf7ba420, v8
	v_add_f32_e32 v40, v35, v7
	v_mul_f32_e32 v7, 0xbf7ba420, v9
	v_mov_b32_e32 v35, v7
	v_fmac_f32_e32 v35, 0x3e3c28d5, v10
	v_add_f32_e32 v41, v35, v13
	v_fma_f32 v13, v8, s15, -v34
	v_add_f32_e32 v34, v13, v6
	v_fmac_f32_e32 v7, 0xbe3c28d5, v10
	v_mul_f32_e32 v6, 0x3eb8f4ab, v11
	v_add_f32_e32 v35, v7, v12
	v_mov_b32_e32 v7, v6
	v_fmac_f32_e32 v7, 0x3f6eb680, v8
	v_add_f32_e32 v58, v58, v62
	v_add_f32_e32 v62, v42, v46
	;; [unrolled: 1-line block ×3, first 2 shown]
	v_mul_f32_e32 v7, 0x3f6eb680, v9
	v_fma_f32 v6, v8, s2, -v6
	v_add_f32_e32 v198, v36, v61
	v_mov_b32_e32 v12, v7
	v_add_f32_e32 v36, v6, v14
	v_fmac_f32_e32 v7, 0x3eb8f4ab, v10
	v_mul_f32_e32 v6, 0xbf06c442, v11
	v_add_f32_e32 v196, v37, v58
	v_add_f32_e32 v37, v7, v16
	v_mov_b32_e32 v7, v6
	v_fmac_f32_e32 v7, 0xbf59a7d5, v8
	v_fmac_f32_e32 v12, 0xbeb8f4ab, v10
	v_add_f32_e32 v46, v7, v19
	v_mul_f32_e32 v7, 0xbf59a7d5, v9
	v_add_f32_e32 v43, v12, v17
	v_mov_b32_e32 v12, v7
	v_fmac_f32_e32 v12, 0x3f06c442, v10
	v_fma_f32 v6, v8, s14, -v6
	v_add_f32_e32 v47, v12, v38
	v_add_f32_e32 v38, v6, v18
	v_fmac_f32_e32 v7, 0xbf06c442, v10
	v_mul_f32_e32 v6, 0x3f2c7751, v11
	v_add_f32_e32 v194, v39, v60
	v_add_f32_e32 v39, v7, v48
	v_mov_b32_e32 v7, v6
	v_fmac_f32_e32 v7, 0x3f3d2fb0, v8
	v_add_f32_e32 v50, v7, v49
	v_mul_f32_e32 v7, 0x3f3d2fb0, v9
	v_fma_f32 v6, v8, s3, -v6
	v_mov_b32_e32 v12, v7
	v_add_f32_e32 v44, v6, v63
	v_fmac_f32_e32 v7, 0x3f2c7751, v10
	v_mul_f32_e32 v6, 0xbf4c4adb, v11
	v_add_f32_e32 v45, v7, v64
	v_mov_b32_e32 v7, v6
	v_fmac_f32_e32 v7, 0xbf1a4643, v8
	v_fmac_f32_e32 v12, 0xbf2c7751, v10
	v_add_f32_e32 v52, v7, v65
	v_mul_f32_e32 v7, 0xbf1a4643, v9
	v_fma_f32 v6, v8, s13, -v6
	v_add_f32_e32 v51, v12, v62
	v_mov_b32_e32 v12, v7
	v_add_f32_e32 v48, v6, v67
	v_fmac_f32_e32 v7, 0xbf4c4adb, v10
	v_mul_f32_e32 v6, 0x3f65296c, v11
	v_add_f32_e32 v49, v7, v91
	v_mov_b32_e32 v7, v6
	v_fmac_f32_e32 v7, 0x3ee437d1, v8
	v_fmac_f32_e32 v12, 0x3f4c4adb, v10
	v_add_f32_e32 v56, v7, v184
	v_mul_f32_e32 v7, 0x3ee437d1, v9
	v_fma_f32 v6, v8, s4, -v6
	v_add_f32_e32 v53, v12, v66
	;; [unrolled: 12-line block ×3, first 2 shown]
	v_mov_b32_e32 v12, v7
	v_add_f32_e32 v58, v6, v195
	v_fmac_f32_e32 v7, 0xbf763a35, v10
	v_mul_f32_e32 v6, 0x3f7ee86f, v11
	v_add_f32_e32 v59, v7, v196
	v_mov_b32_e32 v7, v6
	v_fmac_f32_e32 v7, 0x3dbcf732, v8
	v_add_f32_e32 v62, v7, v197
	v_mul_f32_e32 v7, 0x3dbcf732, v9
	v_mov_b32_e32 v9, v7
	v_fma_f32 v6, v8, s5, -v6
	v_fmac_f32_e32 v7, 0x3f7ee86f, v10
	v_add_f32_e32 v64, v6, v5
	v_add_f32_e32 v65, v7, v4
	;; [unrolled: 1-line block ×30, first 2 shown]
	v_fmac_f32_e32 v12, 0x3f763a35, v10
	v_add_f32_e32 v4, v4, v71
	v_add_f32_e32 v5, v5, v82
	v_sub_f32_e32 v7, v192, v87
	v_add_f32_e32 v61, v12, v194
	v_fmac_f32_e32 v9, 0xbf7ee86f, v10
	v_add_f32_e32 v66, v4, v83
	v_add_f32_e32 v67, v5, v87
	;; [unrolled: 1-line block ×4, first 2 shown]
	v_sub_f32_e32 v6, v189, v83
	v_mul_f32_e32 v8, 0xbeb8f4ab, v7
	v_mul_f32_e32 v12, 0xbf2c7751, v7
	;; [unrolled: 1-line block ×8, first 2 shown]
	v_add_f32_e32 v63, v9, v198
	v_mov_b32_e32 v9, v8
	v_mov_b32_e32 v13, v12
	;; [unrolled: 1-line block ×8, first 2 shown]
	v_fmac_f32_e32 v9, 0x3f6eb680, v4
	v_mul_f32_e32 v10, 0x3f6eb680, v5
	v_fma_f32 v8, v4, s2, -v8
	v_fmac_f32_e32 v13, 0x3f3d2fb0, v4
	v_mul_f32_e32 v14, 0x3f3d2fb0, v5
	v_fma_f32 v12, v4, s3, -v12
	;; [unrolled: 3-line block ×8, first 2 shown]
	v_add_f32_e32 v7, v95, v82
	v_sub_f32_e32 v82, v95, v82
	v_mov_b32_e32 v11, v10
	v_mov_b32_e32 v15, v14
	;; [unrolled: 1-line block ×8, first 2 shown]
	v_mul_f32_e32 v95, 0xbf2c7751, v82
	v_add_f32_e32 v9, v186, v9
	v_fmac_f32_e32 v11, 0x3eb8f4ab, v6
	v_add_f32_e32 v8, v186, v8
	v_fmac_f32_e32 v10, 0xbeb8f4ab, v6
	;; [unrolled: 2-line block ×16, first 2 shown]
	v_add_f32_e32 v6, v188, v71
	v_mov_b32_e32 v186, v95
	v_fmac_f32_e32 v186, 0x3f3d2fb0, v6
	v_sub_f32_e32 v71, v188, v71
	v_add_f32_e32 v9, v186, v9
	v_mul_f32_e32 v186, 0x3f3d2fb0, v7
	v_fma_f32 v95, v6, s3, -v95
	v_add_f32_e32 v11, v187, v11
	v_add_f32_e32 v10, v187, v10
	;; [unrolled: 1-line block ×16, first 2 shown]
	v_mov_b32_e32 v187, v186
	v_add_f32_e32 v8, v95, v8
	v_fmac_f32_e32 v186, 0xbf2c7751, v71
	v_mul_f32_e32 v95, 0xbf7ee86f, v82
	v_add_f32_e32 v10, v186, v10
	v_mov_b32_e32 v186, v95
	v_fmac_f32_e32 v186, 0x3dbcf732, v6
	v_fmac_f32_e32 v187, 0x3f2c7751, v71
	v_add_f32_e32 v13, v186, v13
	v_mul_f32_e32 v186, 0x3dbcf732, v7
	v_fma_f32 v95, v6, s5, -v95
	v_add_f32_e32 v11, v187, v11
	v_mov_b32_e32 v187, v186
	v_add_f32_e32 v12, v95, v12
	v_fmac_f32_e32 v186, 0xbf7ee86f, v71
	v_mul_f32_e32 v95, 0xbf4c4adb, v82
	v_add_f32_e32 v14, v186, v14
	v_mov_b32_e32 v186, v95
	v_fmac_f32_e32 v186, 0xbf1a4643, v6
	v_fmac_f32_e32 v187, 0x3f7ee86f, v71
	v_add_f32_e32 v17, v186, v17
	v_mul_f32_e32 v186, 0xbf1a4643, v7
	v_fma_f32 v95, v6, s13, -v95
	v_add_f32_e32 v15, v187, v15
	v_mov_b32_e32 v187, v186
	v_add_f32_e32 v16, v95, v16
	v_fmac_f32_e32 v186, 0xbf4c4adb, v71
	v_mul_f32_e32 v95, 0xbe3c28d5, v82
	v_add_f32_e32 v18, v186, v18
	v_mov_b32_e32 v186, v95
	v_fmac_f32_e32 v186, 0xbf7ba420, v6
	v_fmac_f32_e32 v187, 0x3f4c4adb, v71
	v_add_f32_e32 v87, v186, v87
	v_mul_f32_e32 v186, 0xbf7ba420, v7
	v_add_f32_e32 v19, v187, v19
	v_mov_b32_e32 v187, v186
	v_fmac_f32_e32 v187, 0x3e3c28d5, v71
	v_fma_f32 v95, v6, s15, -v95
	v_add_f32_e32 v184, v187, v184
	v_add_f32_e32 v83, v95, v83
	v_fmac_f32_e32 v186, 0xbe3c28d5, v71
	v_mul_f32_e32 v95, 0x3f06c442, v82
	v_mul_f32_e32 v187, 0xbf59a7d5, v7
	v_add_f32_e32 v91, v186, v91
	v_mov_b32_e32 v186, v95
	v_mov_b32_e32 v188, v187
	v_fma_f32 v95, v6, s14, -v95
	v_fmac_f32_e32 v187, 0x3f06c442, v71
	v_fmac_f32_e32 v186, 0xbf59a7d5, v6
	v_add_f32_e32 v95, v95, v185
	v_add_f32_e32 v185, v187, v190
	v_mul_f32_e32 v187, 0x3f763a35, v82
	v_add_f32_e32 v186, v186, v189
	v_mov_b32_e32 v189, v187
	v_fma_f32 v187, v6, s12, -v187
	v_fmac_f32_e32 v188, 0xbf06c442, v71
	v_fmac_f32_e32 v189, 0xbe8c1d8e, v6
	v_mul_f32_e32 v190, 0xbe8c1d8e, v7
	v_add_f32_e32 v187, v187, v192
	v_mul_f32_e32 v192, 0x3f65296c, v82
	v_add_f32_e32 v188, v188, v191
	v_add_f32_e32 v189, v189, v193
	v_mov_b32_e32 v191, v190
	v_fmac_f32_e32 v190, 0x3f763a35, v71
	v_mov_b32_e32 v193, v192
	v_add_f32_e32 v190, v190, v194
	v_fmac_f32_e32 v193, 0x3ee437d1, v6
	v_mul_f32_e32 v194, 0x3ee437d1, v7
	v_mul_f32_e32 v7, 0x3f6eb680, v7
	v_fmac_f32_e32 v191, 0xbf763a35, v71
	v_add_f32_e32 v193, v193, v197
	v_fma_f32 v192, v6, s4, -v192
	v_mul_f32_e32 v82, 0x3eb8f4ab, v82
	v_mov_b32_e32 v197, v7
	v_fmac_f32_e32 v7, 0x3eb8f4ab, v71
	v_add_f32_e32 v191, v191, v195
	v_mov_b32_e32 v195, v194
	v_add_f32_e32 v192, v192, v196
	v_mov_b32_e32 v196, v82
	v_add_f32_e32 v5, v7, v5
	v_add_f32_e32 v7, v94, v70
	v_sub_f32_e32 v70, v94, v70
	v_fmac_f32_e32 v195, 0xbf65296c, v71
	v_fmac_f32_e32 v194, 0x3f65296c, v71
	;; [unrolled: 1-line block ×4, first 2 shown]
	v_fma_f32 v6, v6, s2, -v82
	v_mul_f32_e32 v71, 0xbf65296c, v70
	v_add_f32_e32 v4, v6, v4
	v_add_f32_e32 v6, v93, v69
	v_mov_b32_e32 v82, v71
	v_fmac_f32_e32 v82, 0x3ee437d1, v6
	v_sub_f32_e32 v69, v93, v69
	v_add_f32_e32 v9, v82, v9
	v_mul_f32_e32 v82, 0x3ee437d1, v7
	v_fma_f32 v71, v6, s4, -v71
	v_mov_b32_e32 v93, v82
	v_add_f32_e32 v8, v71, v8
	v_fmac_f32_e32 v82, 0xbf65296c, v69
	v_mul_f32_e32 v71, 0xbf4c4adb, v70
	v_add_f32_e32 v10, v82, v10
	v_mov_b32_e32 v82, v71
	v_fmac_f32_e32 v82, 0xbf1a4643, v6
	v_fmac_f32_e32 v93, 0x3f65296c, v69
	v_add_f32_e32 v13, v82, v13
	v_mul_f32_e32 v82, 0xbf1a4643, v7
	v_fma_f32 v71, v6, s13, -v71
	v_add_f32_e32 v11, v93, v11
	v_mov_b32_e32 v93, v82
	v_add_f32_e32 v12, v71, v12
	v_fmac_f32_e32 v82, 0xbf4c4adb, v69
	v_mul_f32_e32 v71, 0x3e3c28d5, v70
	v_add_f32_e32 v14, v82, v14
	v_mov_b32_e32 v82, v71
	v_fmac_f32_e32 v82, 0xbf7ba420, v6
	v_fmac_f32_e32 v93, 0x3f4c4adb, v69
	v_add_f32_e32 v17, v82, v17
	v_mul_f32_e32 v82, 0xbf7ba420, v7
	v_fma_f32 v71, v6, s15, -v71
	v_add_f32_e32 v15, v93, v15
	v_mov_b32_e32 v93, v82
	v_add_f32_e32 v16, v71, v16
	v_fmac_f32_e32 v82, 0x3e3c28d5, v69
	v_mul_f32_e32 v71, 0x3f763a35, v70
	v_add_f32_e32 v18, v82, v18
	v_mov_b32_e32 v82, v71
	v_fmac_f32_e32 v82, 0xbe8c1d8e, v6
	v_fmac_f32_e32 v93, 0xbe3c28d5, v69
	v_add_f32_e32 v82, v82, v87
	v_mul_f32_e32 v87, 0xbe8c1d8e, v7
	v_add_f32_e32 v19, v93, v19
	v_mov_b32_e32 v93, v87
	v_fma_f32 v71, v6, s12, -v71
	v_fmac_f32_e32 v87, 0x3f763a35, v69
	v_add_f32_e32 v71, v71, v83
	v_add_f32_e32 v83, v87, v91
	v_mul_f32_e32 v87, 0x3f2c7751, v70
	v_fmac_f32_e32 v93, 0xbf763a35, v69
	v_mov_b32_e32 v91, v87
	v_mul_f32_e32 v94, 0x3f3d2fb0, v7
	v_fma_f32 v87, v6, s3, -v87
	v_add_f32_e32 v93, v93, v184
	v_mov_b32_e32 v184, v94
	v_add_f32_e32 v87, v87, v95
	v_fmac_f32_e32 v94, 0x3f2c7751, v69
	v_mul_f32_e32 v95, 0xbeb8f4ab, v70
	v_fmac_f32_e32 v91, 0x3f3d2fb0, v6
	v_add_f32_e32 v94, v94, v185
	v_mov_b32_e32 v185, v95
	v_fma_f32 v95, v6, s2, -v95
	v_add_f32_e32 v91, v91, v186
	v_fmac_f32_e32 v184, 0xbf2c7751, v69
	v_fmac_f32_e32 v185, 0x3f6eb680, v6
	v_mul_f32_e32 v186, 0x3f6eb680, v7
	v_add_f32_e32 v95, v95, v187
	v_mul_f32_e32 v187, 0xbf7ee86f, v70
	v_add_f32_e32 v184, v184, v188
	v_add_f32_e32 v185, v185, v189
	v_mov_b32_e32 v188, v186
	v_fmac_f32_e32 v186, 0xbeb8f4ab, v69
	v_mov_b32_e32 v189, v187
	v_add_f32_e32 v186, v186, v190
	v_fmac_f32_e32 v189, 0x3dbcf732, v6
	v_mul_f32_e32 v190, 0x3dbcf732, v7
	v_mul_f32_e32 v7, 0xbf59a7d5, v7
	v_add_f32_e32 v189, v189, v193
	v_fma_f32 v187, v6, s5, -v187
	v_mul_f32_e32 v70, 0xbf06c442, v70
	v_mov_b32_e32 v193, v7
	v_fmac_f32_e32 v7, 0xbf06c442, v69
	v_fmac_f32_e32 v188, 0x3eb8f4ab, v69
	v_add_f32_e32 v187, v187, v192
	v_mov_b32_e32 v192, v70
	v_add_f32_e32 v5, v7, v5
	v_add_f32_e32 v7, v90, v68
	v_sub_f32_e32 v68, v90, v68
	v_add_f32_e32 v188, v188, v191
	v_mov_b32_e32 v191, v190
	v_fmac_f32_e32 v192, 0xbf59a7d5, v6
	v_fma_f32 v6, v6, s14, -v70
	v_mul_f32_e32 v70, 0xbf7ee86f, v68
	v_fmac_f32_e32 v191, 0x3f7ee86f, v69
	v_fmac_f32_e32 v190, 0xbf7ee86f, v69
	;; [unrolled: 1-line block ×3, first 2 shown]
	v_add_f32_e32 v4, v6, v4
	v_add_f32_e32 v6, v92, v75
	v_sub_f32_e32 v69, v92, v75
	v_mov_b32_e32 v75, v70
	v_fmac_f32_e32 v75, 0x3dbcf732, v6
	v_add_f32_e32 v9, v75, v9
	v_mul_f32_e32 v75, 0x3dbcf732, v7
	v_fma_f32 v70, v6, s5, -v70
	v_mov_b32_e32 v90, v75
	v_add_f32_e32 v8, v70, v8
	v_fmac_f32_e32 v75, 0xbf7ee86f, v69
	v_mul_f32_e32 v70, 0xbe3c28d5, v68
	v_add_f32_e32 v10, v75, v10
	v_mov_b32_e32 v75, v70
	v_fmac_f32_e32 v75, 0xbf7ba420, v6
	v_fmac_f32_e32 v90, 0x3f7ee86f, v69
	v_add_f32_e32 v13, v75, v13
	v_mul_f32_e32 v75, 0xbf7ba420, v7
	v_fma_f32 v70, v6, s15, -v70
	v_add_f32_e32 v11, v90, v11
	v_mov_b32_e32 v90, v75
	v_add_f32_e32 v12, v70, v12
	v_fmac_f32_e32 v75, 0xbe3c28d5, v69
	v_mul_f32_e32 v70, 0x3f763a35, v68
	v_add_f32_e32 v14, v75, v14
	v_mov_b32_e32 v75, v70
	v_fmac_f32_e32 v75, 0xbe8c1d8e, v6
	v_fmac_f32_e32 v90, 0x3e3c28d5, v69
	v_add_f32_e32 v17, v75, v17
	v_mul_f32_e32 v75, 0xbe8c1d8e, v7
	v_fma_f32 v70, v6, s12, -v70
	v_add_f32_e32 v15, v90, v15
	v_mov_b32_e32 v90, v75
	v_add_f32_e32 v16, v70, v16
	v_fmac_f32_e32 v75, 0x3f763a35, v69
	v_mul_f32_e32 v70, 0x3eb8f4ab, v68
	v_add_f32_e32 v18, v75, v18
	v_mov_b32_e32 v75, v70
	v_fmac_f32_e32 v75, 0x3f6eb680, v6
	v_fmac_f32_e32 v90, 0xbf763a35, v69
	v_add_f32_e32 v75, v75, v82
	v_mul_f32_e32 v82, 0x3f6eb680, v7
	v_add_f32_e32 v19, v90, v19
	v_mov_b32_e32 v90, v82
	v_fma_f32 v70, v6, s2, -v70
	v_fmac_f32_e32 v82, 0x3eb8f4ab, v69
	v_add_f32_e32 v70, v70, v71
	v_add_f32_e32 v71, v82, v83
	v_mul_f32_e32 v82, 0xbf65296c, v68
	v_mov_b32_e32 v83, v82
	v_fmac_f32_e32 v83, 0x3ee437d1, v6
	v_add_f32_e32 v83, v83, v91
	v_mul_f32_e32 v91, 0x3ee437d1, v7
	v_mov_b32_e32 v92, v91
	v_fma_f32 v82, v6, s4, -v82
	v_fmac_f32_e32 v91, 0xbf65296c, v69
	v_fmac_f32_e32 v90, 0xbeb8f4ab, v69
	v_add_f32_e32 v82, v82, v87
	v_add_f32_e32 v87, v91, v94
	v_mul_f32_e32 v91, 0xbf06c442, v68
	v_add_f32_e32 v90, v90, v93
	v_mov_b32_e32 v93, v91
	v_fma_f32 v91, v6, s14, -v91
	v_fmac_f32_e32 v92, 0x3f65296c, v69
	v_fmac_f32_e32 v93, 0xbf59a7d5, v6
	v_mul_f32_e32 v94, 0xbf59a7d5, v7
	v_add_f32_e32 v91, v91, v95
	v_mul_f32_e32 v95, 0x3f4c4adb, v68
	v_add_f32_e32 v92, v92, v184
	v_add_f32_e32 v93, v93, v185
	v_mov_b32_e32 v184, v94
	v_fmac_f32_e32 v94, 0xbf06c442, v69
	v_mov_b32_e32 v185, v95
	v_fmac_f32_e32 v184, 0x3f06c442, v69
	v_add_f32_e32 v94, v94, v186
	v_fmac_f32_e32 v185, 0xbf1a4643, v6
	v_mul_f32_e32 v186, 0xbf1a4643, v7
	v_fma_f32 v95, v6, s13, -v95
	v_mul_f32_e32 v68, 0x3f2c7751, v68
	v_mul_f32_e32 v7, 0x3f3d2fb0, v7
	v_add_f32_e32 v184, v184, v188
	v_add_f32_e32 v185, v185, v189
	v_mov_b32_e32 v188, v186
	v_add_f32_e32 v95, v95, v187
	v_mov_b32_e32 v187, v68
	v_mov_b32_e32 v189, v7
	v_fmac_f32_e32 v188, 0xbf4c4adb, v69
	v_fmac_f32_e32 v186, 0x3f4c4adb, v69
	;; [unrolled: 1-line block ×4, first 2 shown]
	v_fma_f32 v6, v6, s3, -v68
	v_fmac_f32_e32 v7, 0x3f2c7751, v69
	v_sub_f32_e32 v69, v89, v74
	v_add_f32_e32 v4, v6, v4
	v_add_f32_e32 v6, v88, v73
	v_sub_f32_e32 v68, v88, v73
	v_mul_f32_e32 v73, 0xbf763a35, v69
	v_add_f32_e32 v5, v7, v5
	v_add_f32_e32 v7, v89, v74
	v_mov_b32_e32 v74, v73
	v_fmac_f32_e32 v74, 0xbe8c1d8e, v6
	v_add_f32_e32 v9, v74, v9
	v_mul_f32_e32 v74, 0xbe8c1d8e, v7
	v_fma_f32 v73, v6, s12, -v73
	v_mov_b32_e32 v88, v74
	v_add_f32_e32 v8, v73, v8
	v_fmac_f32_e32 v74, 0xbf763a35, v68
	v_mul_f32_e32 v73, 0x3f06c442, v69
	v_add_f32_e32 v10, v74, v10
	v_mov_b32_e32 v74, v73
	v_fmac_f32_e32 v74, 0xbf59a7d5, v6
	v_fmac_f32_e32 v88, 0x3f763a35, v68
	v_add_f32_e32 v13, v74, v13
	v_mul_f32_e32 v74, 0xbf59a7d5, v7
	v_fma_f32 v73, v6, s14, -v73
	v_add_f32_e32 v11, v88, v11
	v_mov_b32_e32 v88, v74
	v_add_f32_e32 v12, v73, v12
	v_fmac_f32_e32 v74, 0x3f06c442, v68
	v_mul_f32_e32 v73, 0x3f2c7751, v69
	v_add_f32_e32 v14, v74, v14
	v_mov_b32_e32 v74, v73
	v_fmac_f32_e32 v74, 0x3f3d2fb0, v6
	v_fmac_f32_e32 v88, 0xbf06c442, v68
	v_add_f32_e32 v17, v74, v17
	v_mul_f32_e32 v74, 0x3f3d2fb0, v7
	v_fma_f32 v73, v6, s3, -v73
	v_add_f32_e32 v15, v88, v15
	;; [unrolled: 12-line block ×3, first 2 shown]
	v_mov_b32_e32 v88, v75
	v_add_f32_e32 v70, v73, v70
	v_fmac_f32_e32 v75, 0xbf65296c, v68
	v_mul_f32_e32 v73, 0xbe3c28d5, v69
	v_add_f32_e32 v71, v75, v71
	v_mov_b32_e32 v75, v73
	v_fmac_f32_e32 v75, 0xbf7ba420, v6
	v_add_f32_e32 v75, v75, v83
	v_mul_f32_e32 v83, 0xbf7ba420, v7
	v_mov_b32_e32 v89, v83
	v_fma_f32 v73, v6, s15, -v73
	v_fmac_f32_e32 v83, 0xbe3c28d5, v68
	v_add_f32_e32 v73, v73, v82
	v_add_f32_e32 v82, v83, v87
	v_mul_f32_e32 v83, 0x3f7ee86f, v69
	v_fmac_f32_e32 v88, 0x3f65296c, v68
	v_mov_b32_e32 v87, v83
	v_fma_f32 v83, v6, s5, -v83
	v_add_f32_e32 v88, v88, v90
	v_fmac_f32_e32 v89, 0x3e3c28d5, v68
	v_fmac_f32_e32 v87, 0x3dbcf732, v6
	v_mul_f32_e32 v90, 0x3dbcf732, v7
	v_add_f32_e32 v83, v83, v91
	v_mul_f32_e32 v91, 0xbeb8f4ab, v69
	v_add_f32_e32 v89, v89, v92
	v_add_f32_e32 v87, v87, v93
	v_mov_b32_e32 v92, v90
	v_fmac_f32_e32 v90, 0x3f7ee86f, v68
	v_mov_b32_e32 v93, v91
	v_fma_f32 v91, v6, s2, -v91
	v_mul_f32_e32 v69, 0xbf4c4adb, v69
	v_add_f32_e32 v90, v90, v94
	v_fmac_f32_e32 v93, 0x3f6eb680, v6
	v_mul_f32_e32 v94, 0x3f6eb680, v7
	v_add_f32_e32 v91, v91, v95
	v_mov_b32_e32 v95, v69
	v_mul_f32_e32 v7, 0xbf1a4643, v7
	v_fmac_f32_e32 v92, 0xbf7ee86f, v68
	v_add_f32_e32 v93, v93, v185
	v_fmac_f32_e32 v95, 0xbf1a4643, v6
	v_mov_b32_e32 v185, v7
	v_fma_f32 v6, v6, s13, -v69
	v_fmac_f32_e32 v7, 0xbf4c4adb, v68
	v_sub_f32_e32 v69, v86, v72
	v_add_f32_e32 v92, v92, v184
	v_mov_b32_e32 v184, v94
	v_add_f32_e32 v5, v7, v5
	v_add_f32_e32 v7, v86, v72
	v_mul_f32_e32 v72, 0xbf4c4adb, v69
	v_fmac_f32_e32 v184, 0x3eb8f4ab, v68
	v_fmac_f32_e32 v94, 0xbeb8f4ab, v68
	v_fmac_f32_e32 v185, 0x3f4c4adb, v68
	v_add_f32_e32 v4, v6, v4
	v_add_f32_e32 v6, v85, v79
	v_sub_f32_e32 v68, v85, v79
	v_mov_b32_e32 v79, v72
	v_fmac_f32_e32 v79, 0xbf1a4643, v6
	v_add_f32_e32 v9, v79, v9
	v_mul_f32_e32 v79, 0xbf1a4643, v7
	v_fma_f32 v72, v6, s13, -v72
	v_mov_b32_e32 v85, v79
	v_add_f32_e32 v8, v72, v8
	v_fmac_f32_e32 v79, 0xbf4c4adb, v68
	v_mul_f32_e32 v72, 0x3f763a35, v69
	v_add_f32_e32 v10, v79, v10
	v_mov_b32_e32 v79, v72
	v_fmac_f32_e32 v79, 0xbe8c1d8e, v6
	v_fmac_f32_e32 v85, 0x3f4c4adb, v68
	v_add_f32_e32 v13, v79, v13
	v_mul_f32_e32 v79, 0xbe8c1d8e, v7
	v_fma_f32 v72, v6, s12, -v72
	v_add_f32_e32 v11, v85, v11
	v_mov_b32_e32 v85, v79
	v_add_f32_e32 v12, v72, v12
	v_fmac_f32_e32 v79, 0x3f763a35, v68
	v_mul_f32_e32 v72, 0xbeb8f4ab, v69
	v_add_f32_e32 v14, v79, v14
	v_mov_b32_e32 v79, v72
	v_fmac_f32_e32 v79, 0x3f6eb680, v6
	v_fmac_f32_e32 v85, 0xbf763a35, v68
	v_add_f32_e32 v17, v79, v17
	v_mul_f32_e32 v79, 0x3f6eb680, v7
	v_fma_f32 v72, v6, s2, -v72
	v_add_f32_e32 v15, v85, v15
	;; [unrolled: 12-line block ×3, first 2 shown]
	v_mov_b32_e32 v85, v79
	v_add_f32_e32 v70, v72, v70
	v_fmac_f32_e32 v79, 0xbf06c442, v68
	v_mul_f32_e32 v72, 0x3f7ee86f, v69
	v_add_f32_e32 v71, v79, v71
	v_mov_b32_e32 v79, v72
	v_fmac_f32_e32 v79, 0x3dbcf732, v6
	v_add_f32_e32 v75, v79, v75
	v_mul_f32_e32 v79, 0x3dbcf732, v7
	v_mov_b32_e32 v86, v79
	v_fma_f32 v72, v6, s5, -v72
	v_fmac_f32_e32 v79, 0x3f7ee86f, v68
	v_add_f32_e32 v72, v72, v73
	v_add_f32_e32 v73, v79, v82
	v_mul_f32_e32 v79, 0xbf2c7751, v69
	v_mov_b32_e32 v82, v79
	v_fmac_f32_e32 v82, 0x3f3d2fb0, v6
	v_fmac_f32_e32 v85, 0x3f06c442, v68
	v_add_f32_e32 v82, v82, v87
	v_mul_f32_e32 v87, 0x3f3d2fb0, v7
	v_add_f32_e32 v85, v85, v88
	v_mov_b32_e32 v88, v87
	v_fma_f32 v79, v6, s3, -v79
	v_fmac_f32_e32 v87, 0xbf2c7751, v68
	v_fmac_f32_e32 v86, 0xbf7ee86f, v68
	v_add_f32_e32 v79, v79, v83
	v_add_f32_e32 v83, v87, v90
	v_mul_f32_e32 v87, 0xbe3c28d5, v69
	v_add_f32_e32 v86, v86, v89
	v_mov_b32_e32 v89, v87
	v_fma_f32 v87, v6, s15, -v87
	v_mul_f32_e32 v69, 0x3f65296c, v69
	v_fmac_f32_e32 v88, 0x3f2c7751, v68
	v_fmac_f32_e32 v89, 0xbf7ba420, v6
	v_mul_f32_e32 v90, 0xbf7ba420, v7
	v_add_f32_e32 v87, v87, v91
	v_mov_b32_e32 v91, v69
	v_mul_f32_e32 v7, 0x3ee437d1, v7
	v_add_f32_e32 v88, v88, v92
	v_add_f32_e32 v89, v89, v93
	v_mov_b32_e32 v92, v90
	v_fmac_f32_e32 v91, 0x3ee437d1, v6
	v_mov_b32_e32 v93, v7
	v_fma_f32 v6, v6, s4, -v69
	v_sub_f32_e32 v69, v81, v78
	v_fmac_f32_e32 v92, 0x3e3c28d5, v68
	v_fmac_f32_e32 v90, 0xbe3c28d5, v68
	;; [unrolled: 1-line block ×3, first 2 shown]
	v_add_f32_e32 v4, v6, v4
	v_fmac_f32_e32 v7, 0x3f65296c, v68
	v_add_f32_e32 v6, v84, v77
	v_sub_f32_e32 v68, v84, v77
	v_mul_f32_e32 v77, 0xbf06c442, v69
	v_add_f32_e32 v5, v7, v5
	v_add_f32_e32 v7, v81, v78
	v_mov_b32_e32 v78, v77
	v_fmac_f32_e32 v78, 0xbf59a7d5, v6
	v_add_f32_e32 v9, v78, v9
	v_mul_f32_e32 v78, 0xbf59a7d5, v7
	v_fma_f32 v77, v6, s14, -v77
	v_mov_b32_e32 v81, v78
	v_add_f32_e32 v8, v77, v8
	v_fmac_f32_e32 v78, 0xbf06c442, v68
	v_mul_f32_e32 v77, 0x3f65296c, v69
	v_add_f32_e32 v10, v78, v10
	v_mov_b32_e32 v78, v77
	v_fmac_f32_e32 v78, 0x3ee437d1, v6
	v_fmac_f32_e32 v81, 0x3f06c442, v68
	v_add_f32_e32 v13, v78, v13
	v_mul_f32_e32 v78, 0x3ee437d1, v7
	v_fma_f32 v77, v6, s4, -v77
	v_add_f32_e32 v11, v81, v11
	v_mov_b32_e32 v81, v78
	v_add_f32_e32 v12, v77, v12
	v_fmac_f32_e32 v78, 0x3f65296c, v68
	v_mul_f32_e32 v77, 0xbf7ee86f, v69
	v_add_f32_e32 v14, v78, v14
	v_mov_b32_e32 v78, v77
	v_fmac_f32_e32 v78, 0x3dbcf732, v6
	v_fmac_f32_e32 v81, 0xbf65296c, v68
	v_add_f32_e32 v17, v78, v17
	v_mul_f32_e32 v78, 0x3dbcf732, v7
	v_fma_f32 v77, v6, s5, -v77
	v_add_f32_e32 v15, v81, v15
	;; [unrolled: 12-line block ×3, first 2 shown]
	v_mov_b32_e32 v81, v78
	v_add_f32_e32 v70, v77, v70
	v_fmac_f32_e32 v78, 0x3f4c4adb, v68
	v_mul_f32_e32 v77, 0xbeb8f4ab, v69
	v_add_f32_e32 v71, v78, v71
	v_mov_b32_e32 v78, v77
	v_fmac_f32_e32 v78, 0x3f6eb680, v6
	v_add_f32_e32 v75, v78, v75
	v_mul_f32_e32 v78, 0x3f6eb680, v7
	v_fma_f32 v77, v6, s2, -v77
	v_mov_b32_e32 v84, v78
	v_add_f32_e32 v72, v77, v72
	v_fmac_f32_e32 v78, 0xbeb8f4ab, v68
	v_mul_f32_e32 v77, 0xbe3c28d5, v69
	v_add_f32_e32 v73, v78, v73
	v_mov_b32_e32 v78, v77
	v_fmac_f32_e32 v78, 0xbf7ba420, v6
	v_add_f32_e32 v195, v195, v199
	v_fmac_f32_e32 v81, 0xbf4c4adb, v68
	v_add_f32_e32 v78, v78, v82
	v_mul_f32_e32 v82, 0xbf7ba420, v7
	v_add_f32_e32 v194, v194, v198
	v_add_f32_e32 v191, v191, v195
	;; [unrolled: 1-line block ×3, first 2 shown]
	v_fmac_f32_e32 v84, 0x3eb8f4ab, v68
	v_mov_b32_e32 v85, v82
	v_fma_f32 v77, v6, s15, -v77
	v_fmac_f32_e32 v82, 0xbe3c28d5, v68
	v_add_f32_e32 v190, v190, v194
	v_add_f32_e32 v188, v188, v191
	;; [unrolled: 1-line block ×3, first 2 shown]
	v_fmac_f32_e32 v85, 0x3e3c28d5, v68
	v_add_f32_e32 v77, v77, v79
	v_add_f32_e32 v79, v82, v83
	v_mul_f32_e32 v82, 0x3f2c7751, v69
	v_mul_f32_e32 v86, 0x3f3d2fb0, v7
	v_add_f32_e32 v197, v197, v201
	v_add_f32_e32 v186, v186, v190
	;; [unrolled: 1-line block ×4, first 2 shown]
	v_mov_b32_e32 v83, v82
	v_mov_b32_e32 v88, v86
	v_fma_f32 v82, v6, s3, -v82
	v_mul_f32_e32 v69, 0xbf763a35, v69
	v_add_f32_e32 v196, v196, v200
	v_add_f32_e32 v193, v193, v197
	;; [unrolled: 1-line block ×4, first 2 shown]
	v_fmac_f32_e32 v88, 0xbf2c7751, v68
	v_add_f32_e32 v82, v82, v87
	v_mov_b32_e32 v87, v69
	v_add_f32_e32 v192, v192, v196
	v_add_f32_e32 v189, v189, v193
	;; [unrolled: 1-line block ×3, first 2 shown]
	v_fmac_f32_e32 v83, 0x3f3d2fb0, v6
	v_add_f32_e32 v88, v88, v92
	v_fmac_f32_e32 v86, 0x3f2c7751, v68
	v_fmac_f32_e32 v87, 0xbe8c1d8e, v6
	v_mul_f32_e32 v7, 0xbe8c1d8e, v7
	v_fma_f32 v6, v6, s12, -v69
	v_add_f32_e32 v92, v2, v80
	v_sub_f32_e32 v94, v2, v80
	v_sub_f32_e32 v80, v3, v76
	v_add_f32_e32 v187, v187, v192
	v_add_f32_e32 v185, v185, v189
	;; [unrolled: 1-line block ×4, first 2 shown]
	v_mov_b32_e32 v89, v7
	v_add_f32_e32 v90, v6, v4
	v_mul_f32_e32 v4, 0xbe3c28d5, v80
	v_add_f32_e32 v95, v95, v187
	v_add_f32_e32 v93, v93, v185
	v_fmac_f32_e32 v89, 0x3f763a35, v68
	v_mov_b32_e32 v2, v4
	v_fma_f32 v4, v92, s15, -v4
	v_add_f32_e32 v91, v91, v95
	v_add_f32_e32 v89, v89, v93
	v_fmac_f32_e32 v7, 0xbf763a35, v68
	v_add_f32_e32 v93, v3, v76
	v_add_f32_e32 v4, v4, v8
	v_mul_f32_e32 v8, 0x3eb8f4ab, v80
	v_add_f32_e32 v87, v87, v91
	v_add_f32_e32 v91, v7, v5
	v_mul_f32_e32 v5, 0xbf7ba420, v93
	v_mov_b32_e32 v6, v8
	v_fma_f32 v8, v92, s2, -v8
	v_fmac_f32_e32 v2, 0xbf7ba420, v92
	v_mov_b32_e32 v3, v5
	v_fmac_f32_e32 v5, 0xbe3c28d5, v94
	v_fmac_f32_e32 v6, 0x3f6eb680, v92
	v_add_f32_e32 v8, v8, v12
	v_mul_f32_e32 v12, 0xbf06c442, v80
	v_add_f32_e32 v2, v2, v9
	v_fmac_f32_e32 v3, 0x3e3c28d5, v94
	v_add_f32_e32 v5, v5, v10
	v_add_f32_e32 v6, v6, v13
	v_mul_f32_e32 v9, 0x3f6eb680, v93
	v_mov_b32_e32 v10, v12
	v_mul_f32_e32 v13, 0xbf59a7d5, v93
	v_add_f32_e32 v3, v3, v11
	v_mov_b32_e32 v7, v9
	v_fmac_f32_e32 v10, 0xbf59a7d5, v92
	v_mov_b32_e32 v11, v13
	v_fma_f32 v12, v92, s14, -v12
	v_fmac_f32_e32 v13, 0xbf06c442, v94
	v_mul_f32_e32 v68, 0xbf4c4adb, v80
	v_fmac_f32_e32 v7, 0xbeb8f4ab, v94
	v_fmac_f32_e32 v9, 0x3eb8f4ab, v94
	v_add_f32_e32 v10, v10, v17
	v_fmac_f32_e32 v11, 0x3f06c442, v94
	v_add_f32_e32 v12, v12, v16
	v_add_f32_e32 v13, v13, v18
	v_mul_f32_e32 v16, 0x3f2c7751, v80
	v_mul_f32_e32 v17, 0x3f3d2fb0, v93
	v_mov_b32_e32 v18, v68
	v_mul_f32_e32 v69, 0xbf1a4643, v93
	v_fma_f32 v68, v92, s13, -v68
	v_add_f32_e32 v7, v7, v15
	v_add_f32_e32 v9, v9, v14
	;; [unrolled: 1-line block ×3, first 2 shown]
	v_mov_b32_e32 v14, v16
	v_mov_b32_e32 v15, v17
	v_fma_f32 v16, v92, s3, -v16
	v_mov_b32_e32 v19, v69
	v_add_f32_e32 v68, v68, v72
	v_fmac_f32_e32 v69, 0xbf4c4adb, v94
	v_mul_f32_e32 v72, 0x3f65296c, v80
	v_fmac_f32_e32 v15, 0xbf2c7751, v94
	v_add_f32_e32 v16, v16, v70
	v_fmac_f32_e32 v17, 0x3f2c7751, v94
	v_add_f32_e32 v69, v69, v73
	v_mov_b32_e32 v70, v72
	v_mul_f32_e32 v73, 0x3ee437d1, v93
	v_fma_f32 v72, v92, s4, -v72
	v_fmac_f32_e32 v14, 0x3f3d2fb0, v92
	v_add_f32_e32 v15, v15, v81
	v_add_f32_e32 v17, v17, v71
	v_fmac_f32_e32 v18, 0xbf1a4643, v92
	v_fmac_f32_e32 v70, 0x3ee437d1, v92
	v_mov_b32_e32 v71, v73
	v_add_f32_e32 v72, v72, v77
	v_fmac_f32_e32 v73, 0x3f65296c, v94
	v_mul_f32_e32 v76, 0xbf763a35, v80
	v_mul_f32_e32 v77, 0xbe8c1d8e, v93
	v_mul_f32_e32 v80, 0x3f7ee86f, v80
	v_mul_f32_e32 v81, 0x3dbcf732, v93
	v_add_f32_e32 v14, v14, v74
	v_add_f32_e32 v18, v18, v75
	v_add_f32_e32 v70, v70, v78
	v_add_f32_e32 v73, v73, v79
	v_mov_b32_e32 v74, v76
	v_mov_b32_e32 v75, v77
	;; [unrolled: 1-line block ×4, first 2 shown]
	v_fmac_f32_e32 v19, 0x3f4c4adb, v94
	v_fmac_f32_e32 v71, 0xbf65296c, v94
	;; [unrolled: 1-line block ×4, first 2 shown]
	v_fma_f32 v76, v92, s12, -v76
	v_fmac_f32_e32 v77, 0xbf763a35, v94
	v_fmac_f32_e32 v78, 0x3dbcf732, v92
	;; [unrolled: 1-line block ×3, first 2 shown]
	v_fma_f32 v80, v92, s5, -v80
	v_fmac_f32_e32 v81, 0x3f7ee86f, v94
	v_add_f32_e32 v19, v19, v84
	v_add_f32_e32 v71, v71, v85
	;; [unrolled: 1-line block ×10, first 2 shown]
	s_waitcnt lgkmcnt(0)
	; wave barrier
	ds_write2_b64 v0, v[32:33], v[40:41] offset1:7
	ds_write2_b64 v0, v[42:43], v[46:47] offset0:14 offset1:21
	ds_write2_b64 v0, v[50:51], v[52:53] offset0:28 offset1:35
	;; [unrolled: 1-line block ×7, first 2 shown]
	ds_write_b64 v0, v[34:35] offset:896
	ds_write2_b64 v1, v[66:67], v[2:3] offset1:7
	ds_write2_b64 v1, v[6:7], v[10:11] offset0:14 offset1:21
	ds_write2_b64 v1, v[14:15], v[18:19] offset0:28 offset1:35
	;; [unrolled: 1-line block ×7, first 2 shown]
	ds_write_b64 v1, v[4:5] offset:896
	s_and_saveexec_b64 s[0:1], vcc
	s_cbranch_execz .LBB0_9
; %bb.8:
	buffer_load_dword v1, off, s[20:23], 0 offset:384 ; 4-byte Folded Reload
	buffer_load_dword v2, off, s[20:23], 0 offset:388 ; 4-byte Folded Reload
	buffer_load_dword v3, off, s[20:23], 0 offset:392 ; 4-byte Folded Reload
	buffer_load_dword v4, off, s[20:23], 0 offset:396 ; 4-byte Folded Reload
	v_mul_f32_e32 v0, v31, v138
	v_fma_f32 v33, v30, v139, -v0
	v_mul_f32_e32 v31, v31, v139
	v_fmac_f32_e32 v31, v30, v138
	v_mul_f32_e32 v39, v27, v167
	v_fmac_f32_e32 v39, v26, v166
	;; [unrolled: 2-line block ×3, first 2 shown]
	v_mov_b32_e32 v250, v22
	v_mov_b32_e32 v249, v21
	s_waitcnt vmcnt(2)
	v_mul_f32_e32 v0, v2, v120
	v_mul_f32_e32 v34, v2, v121
	v_fma_f32 v35, v1, v121, -v0
	v_fmac_f32_e32 v34, v1, v120
	v_mul_f32_e32 v1, v29, v136
	v_fma_f32 v36, v28, v137, -v1
	s_waitcnt vmcnt(0)
	v_mul_f32_e32 v1, v4, v122
	v_mul_f32_e32 v37, v4, v123
	v_fma_f32 v40, v3, v123, -v1
	v_fmac_f32_e32 v37, v3, v122
	buffer_load_dword v2, off, s[20:23], 0 offset:352 ; 4-byte Folded Reload
	buffer_load_dword v3, off, s[20:23], 0 offset:356 ; 4-byte Folded Reload
	;; [unrolled: 1-line block ×4, first 2 shown]
	v_add_f32_e32 v58, v33, v35
	v_mul_f32_e32 v32, 0xbf7ba420, v58
	v_add_f32_e32 v63, v36, v40
	v_mul_f32_e32 v29, v29, v137
	v_sub_f32_e32 v16, v34, v31
	v_mov_b32_e32 v0, v32
	v_mul_f32_e32 v30, 0x3f6eb680, v63
	v_fmac_f32_e32 v29, v28, v136
	v_fmac_f32_e32 v0, 0x3e3c28d5, v16
	v_sub_f32_e32 v17, v37, v29
	v_mov_b32_e32 v1, v30
	v_add_f32_e32 v0, v253, v0
	v_fmac_f32_e32 v1, 0xbeb8f4ab, v17
	v_add_f32_e32 v0, v1, v0
	v_mul_f32_e32 v1, v27, v166
	v_fma_f32 v41, v26, v167, -v1
	buffer_load_dword v6, off, s[20:23], 0 offset:400 ; 4-byte Folded Reload
	buffer_load_dword v7, off, s[20:23], 0 offset:404 ; 4-byte Folded Reload
	;; [unrolled: 1-line block ×4, first 2 shown]
	v_sub_f32_e32 v94, v35, v33
	v_mul_f32_e32 v60, 0xbe3c28d5, v94
	v_sub_f32_e32 v95, v40, v36
	v_add_f32_e32 v13, v31, v34
	v_mul_f32_e32 v62, 0x3eb8f4ab, v95
	v_add_f32_e32 v15, v29, v37
	v_mul_f32_e32 v77, 0xbf59a7d5, v58
	v_mul_f32_e32 v78, 0x3ee437d1, v63
	;; [unrolled: 1-line block ×8, first 2 shown]
	v_add_f32_e32 v35, v35, v253
	v_add_f32_e32 v35, v40, v35
	v_mul_f32_e32 v198, 0x3dbcf732, v58
	v_mul_f32_e32 v199, 0xbf7ba420, v63
	;; [unrolled: 1-line block ×4, first 2 shown]
	v_mov_b32_e32 v10, v207
	v_fmac_f32_e32 v10, 0xbf7ba420, v15
	v_fmac_f32_e32 v32, 0xbe3c28d5, v16
	;; [unrolled: 1-line block ×3, first 2 shown]
	v_mul_f32_e32 v214, 0x3ee437d1, v58
	v_mul_f32_e32 v215, 0xbf1a4643, v63
	v_mov_b32_e32 v11, v215
	v_fmac_f32_e32 v11, 0x3f4c4adb, v17
	v_mul_f32_e32 v222, 0xbf65296c, v94
	v_mul_f32_e32 v223, 0xbf4c4adb, v95
	v_mov_b32_e32 v88, v223
	v_fmac_f32_e32 v88, 0xbf1a4643, v15
	;; [unrolled: 4-line block ×4, first 2 shown]
	v_fma_f32 v40, v15, s15, -v207
	v_fmac_f32_e32 v215, 0xbf4c4adb, v17
	v_fmac_f32_e32 v231, 0xbf7ee86f, v17
	s_waitcnt vmcnt(6)
	v_mul_f32_e32 v1, v3, v144
	v_fma_f32 v45, v2, v145, -v1
	v_add_f32_e32 v70, v41, v45
	v_mul_f32_e32 v42, v3, v145
	v_mul_f32_e32 v28, 0xbf59a7d5, v70
	v_fmac_f32_e32 v42, v2, v144
	v_sub_f32_e32 v18, v42, v39
	v_mov_b32_e32 v1, v28
	v_fmac_f32_e32 v1, 0x3f06c442, v18
	v_add_f32_e32 v0, v1, v0
	v_mul_f32_e32 v1, v25, v164
	v_fma_f32 v48, v24, v165, -v1
	s_waitcnt vmcnt(4)
	v_mul_f32_e32 v1, v5, v146
	v_mul_f32_e32 v46, v5, v147
	v_fma_f32 v50, v4, v147, -v1
	v_fmac_f32_e32 v46, v4, v146
	buffer_load_dword v2, off, s[20:23], 0 offset:336 ; 4-byte Folded Reload
	buffer_load_dword v3, off, s[20:23], 0 offset:340 ; 4-byte Folded Reload
	;; [unrolled: 1-line block ×4, first 2 shown]
	v_add_f32_e32 v79, v48, v50
	v_mul_f32_e32 v38, 0x3f3d2fb0, v79
	v_sub_f32_e32 v19, v46, v44
	v_mov_b32_e32 v1, v38
	v_fmac_f32_e32 v1, 0xbf2c7751, v19
	v_add_f32_e32 v0, v1, v0
	s_waitcnt vmcnt(4)
	v_mul_f32_e32 v1, v9, v174
	v_fma_f32 v53, v8, v175, -v1
	v_mul_f32_e32 v49, v9, v175
	v_fmac_f32_e32 v49, v8, v174
	v_mul_f32_e32 v56, v7, v173
	v_fmac_f32_e32 v56, v6, v172
	v_sub_f32_e32 v120, v45, v41
	v_mul_f32_e32 v66, 0xbf06c442, v120
	v_add_f32_e32 v21, v39, v42
	v_sub_f32_e32 v121, v50, v48
	v_mul_f32_e32 v67, 0x3f2c7751, v121
	v_add_f32_e32 v23, v44, v46
	v_mul_f32_e32 v80, 0x3dbcf732, v70
	v_mul_f32_e32 v82, 0xbf1a4643, v79
	;; [unrolled: 1-line block ×10, first 2 shown]
	v_add_f32_e32 v35, v45, v35
	v_add_f32_e32 v35, v50, v35
	v_mul_f32_e32 v200, 0xbe8c1d8e, v70
	v_mul_f32_e32 v201, 0x3f6eb680, v79
	;; [unrolled: 1-line block ×4, first 2 shown]
	v_fmac_f32_e32 v28, 0xbf06c442, v18
	v_fmac_f32_e32 v38, 0x3f2c7751, v19
	v_mul_f32_e32 v216, 0xbf7ba420, v70
	v_mul_f32_e32 v217, 0xbe8c1d8e, v79
	;; [unrolled: 1-line block ×8, first 2 shown]
	v_mov_b32_e32 v248, v95
	v_fmac_f32_e32 v248, 0x3f3d2fb0, v15
	s_waitcnt vmcnt(2)
	v_mul_f32_e32 v1, v3, v168
	v_fma_f32 v55, v2, v169, -v1
	v_add_f32_e32 v90, v53, v55
	v_mul_f32_e32 v52, v3, v169
	v_mul_f32_e32 v43, 0xbf1a4643, v90
	v_fmac_f32_e32 v52, v2, v168
	v_sub_f32_e32 v22, v52, v49
	v_mov_b32_e32 v1, v43
	v_fmac_f32_e32 v1, 0x3f4c4adb, v22
	v_add_f32_e32 v0, v1, v0
	v_mul_f32_e32 v1, v7, v172
	v_fma_f32 v59, v6, v173, -v1
	s_waitcnt vmcnt(0)
	v_mul_f32_e32 v1, v5, v170
	v_mul_f32_e32 v57, v5, v171
	buffer_load_dword v6, off, s[20:23], 0 offset:368 ; 4-byte Folded Reload
	buffer_load_dword v7, off, s[20:23], 0 offset:372 ; 4-byte Folded Reload
	;; [unrolled: 1-line block ×4, first 2 shown]
	v_fma_f32 v61, v4, v171, -v1
	v_fmac_f32_e32 v57, v4, v170
	buffer_load_dword v2, off, s[20:23], 0 offset:320 ; 4-byte Folded Reload
	buffer_load_dword v3, off, s[20:23], 0 offset:324 ; 4-byte Folded Reload
	;; [unrolled: 1-line block ×4, first 2 shown]
	v_add_f32_e32 v91, v59, v61
	v_mul_f32_e32 v47, 0x3ee437d1, v91
	v_sub_f32_e32 v20, v57, v56
	v_mov_b32_e32 v1, v47
	v_fmac_f32_e32 v1, 0xbf65296c, v20
	v_add_f32_e32 v0, v1, v0
	v_sub_f32_e32 v122, v55, v53
	v_mul_f32_e32 v69, 0xbf4c4adb, v122
	v_add_f32_e32 v24, v49, v52
	v_sub_f32_e32 v123, v61, v59
	v_mul_f32_e32 v72, 0x3f65296c, v123
	v_add_f32_e32 v25, v56, v57
	v_mul_f32_e32 v83, 0x3f6eb680, v90
	v_mul_f32_e32 v84, 0xbf7ba420, v91
	;; [unrolled: 1-line block ×12, first 2 shown]
	v_add_f32_e32 v35, v55, v35
	v_add_f32_e32 v35, v61, v35
	v_mul_f32_e32 v202, 0x3ee437d1, v90
	v_mul_f32_e32 v203, 0xbf59a7d5, v91
	v_mul_f32_e32 v210, 0xbf65296c, v122
	v_mul_f32_e32 v211, 0xbf06c442, v123
	v_fmac_f32_e32 v43, 0xbf4c4adb, v22
	v_fmac_f32_e32 v47, 0x3f65296c, v20
	v_mul_f32_e32 v218, 0x3f3d2fb0, v90
	v_mul_f32_e32 v219, 0x3f6eb680, v91
	;; [unrolled: 1-line block ×8, first 2 shown]
	s_waitcnt vmcnt(4)
	v_mul_f32_e32 v1, v9, v182
	v_fma_f32 v68, v8, v183, -v1
	v_mul_f32_e32 v65, v9, v183
	s_waitcnt vmcnt(2)
	v_mul_f32_e32 v1, v3, v176
	v_fma_f32 v71, v2, v177, -v1
	v_add_f32_e32 v92, v68, v71
	v_mul_f32_e32 v64, v3, v177
	v_mul_f32_e32 v51, 0xbe8c1d8e, v92
	v_fmac_f32_e32 v64, v2, v176
	v_fmac_f32_e32 v65, v8, v182
	v_sub_f32_e32 v14, v64, v65
	v_mov_b32_e32 v1, v51
	v_fmac_f32_e32 v1, 0x3f763a35, v14
	v_add_f32_e32 v0, v1, v0
	v_mul_f32_e32 v1, v7, v180
	v_fma_f32 v81, v6, v181, -v1
	s_waitcnt vmcnt(0)
	v_mul_f32_e32 v1, v5, v178
	v_fma_f32 v85, v4, v179, -v1
	v_add_f32_e32 v93, v81, v85
	v_mul_f32_e32 v73, v5, v179
	v_mul_f32_e32 v74, v7, v181
	;; [unrolled: 1-line block ×3, first 2 shown]
	v_fmac_f32_e32 v73, v4, v178
	v_fmac_f32_e32 v74, v6, v180
	v_sub_f32_e32 v12, v73, v74
	v_mov_b32_e32 v1, v54
	v_fmac_f32_e32 v1, 0xbf7ee86f, v12
	v_add_f32_e32 v1, v1, v0
	v_mov_b32_e32 v0, v60
	v_fmac_f32_e32 v0, 0xbf7ba420, v13
	v_mov_b32_e32 v2, v62
	v_add_f32_e32 v0, v252, v0
	v_fmac_f32_e32 v2, 0x3f6eb680, v15
	v_add_f32_e32 v0, v2, v0
	v_mov_b32_e32 v2, v66
	v_fmac_f32_e32 v2, 0xbf59a7d5, v21
	v_add_f32_e32 v0, v2, v0
	v_mov_b32_e32 v2, v67
	;; [unrolled: 3-line block ×4, first 2 shown]
	v_sub_f32_e32 v136, v71, v68
	v_fmac_f32_e32 v2, 0x3ee437d1, v25
	v_mul_f32_e32 v75, 0xbf763a35, v136
	v_add_f32_e32 v0, v2, v0
	v_add_f32_e32 v26, v65, v64
	v_mov_b32_e32 v2, v75
	v_sub_f32_e32 v137, v85, v81
	v_fmac_f32_e32 v2, 0xbe8c1d8e, v26
	v_mul_f32_e32 v76, 0x3f7ee86f, v137
	v_add_f32_e32 v0, v2, v0
	v_add_f32_e32 v27, v74, v73
	v_mov_b32_e32 v2, v76
	v_fmac_f32_e32 v2, 0x3dbcf732, v27
	v_add_f32_e32 v0, v2, v0
	v_mov_b32_e32 v2, v77
	v_fmac_f32_e32 v2, 0x3f06c442, v16
	v_mov_b32_e32 v3, v78
	v_add_f32_e32 v2, v253, v2
	v_fmac_f32_e32 v3, 0xbf65296c, v17
	v_add_f32_e32 v2, v3, v2
	v_mov_b32_e32 v3, v80
	v_fmac_f32_e32 v3, 0x3f7ee86f, v18
	v_add_f32_e32 v2, v3, v2
	v_mov_b32_e32 v3, v82
	v_fmac_f32_e32 v3, 0xbf4c4adb, v19
	v_add_f32_e32 v2, v3, v2
	v_mov_b32_e32 v3, v83
	v_fmac_f32_e32 v3, 0x3eb8f4ab, v22
	v_add_f32_e32 v2, v3, v2
	v_mov_b32_e32 v3, v84
	v_fmac_f32_e32 v3, 0x3e3c28d5, v20
	v_mul_f32_e32 v86, 0x3f3d2fb0, v92
	v_add_f32_e32 v2, v3, v2
	v_mov_b32_e32 v3, v86
	v_fmac_f32_e32 v3, 0xbf2c7751, v14
	v_mul_f32_e32 v87, 0xbe8c1d8e, v93
	v_add_f32_e32 v2, v3, v2
	v_mov_b32_e32 v3, v87
	v_fmac_f32_e32 v3, 0x3f763a35, v12
	v_add_f32_e32 v3, v3, v2
	v_mov_b32_e32 v2, v138
	v_fmac_f32_e32 v2, 0xbf59a7d5, v13
	v_mov_b32_e32 v4, v139
	v_add_f32_e32 v2, v252, v2
	v_fmac_f32_e32 v4, 0x3ee437d1, v15
	v_add_f32_e32 v2, v4, v2
	v_mov_b32_e32 v4, v144
	v_fmac_f32_e32 v4, 0x3dbcf732, v21
	v_add_f32_e32 v2, v4, v2
	v_mov_b32_e32 v4, v145
	v_fmac_f32_e32 v4, 0xbf1a4643, v23
	v_add_f32_e32 v2, v4, v2
	v_mov_b32_e32 v4, v146
	v_fmac_f32_e32 v4, 0x3f6eb680, v24
	v_add_f32_e32 v2, v4, v2
	v_mov_b32_e32 v4, v147
	v_fmac_f32_e32 v4, 0xbf7ba420, v25
	v_mul_f32_e32 v164, 0x3f2c7751, v136
	v_add_f32_e32 v2, v4, v2
	v_mov_b32_e32 v4, v164
	v_fmac_f32_e32 v4, 0x3f3d2fb0, v26
	v_mul_f32_e32 v165, 0xbf763a35, v137
	;; [unrolled: 26-line block ×3, first 2 shown]
	v_add_f32_e32 v4, v5, v4
	v_mov_b32_e32 v5, v173
	v_fmac_f32_e32 v5, 0xbf65296c, v12
	v_add_f32_e32 v5, v5, v4
	v_mov_b32_e32 v4, v174
	v_fmac_f32_e32 v4, 0xbf1a4643, v13
	v_mov_b32_e32 v6, v175
	v_add_f32_e32 v4, v252, v4
	v_fmac_f32_e32 v6, 0xbe8c1d8e, v15
	v_mul_f32_e32 v176, 0xbeb8f4ab, v120
	v_add_f32_e32 v4, v6, v4
	v_mov_b32_e32 v6, v176
	v_fmac_f32_e32 v6, 0x3f6eb680, v21
	v_mul_f32_e32 v177, 0xbf06c442, v121
	v_add_f32_e32 v4, v6, v4
	v_mov_b32_e32 v6, v177
	;; [unrolled: 4-line block ×7, first 2 shown]
	v_mul_f32_e32 v183, 0xbf59a7d5, v63
	v_fmac_f32_e32 v6, 0x3f763a35, v16
	v_mov_b32_e32 v7, v183
	v_add_f32_e32 v6, v253, v6
	v_fmac_f32_e32 v7, 0xbf06c442, v17
	v_add_f32_e32 v6, v7, v6
	v_mov_b32_e32 v7, v184
	v_fmac_f32_e32 v7, 0xbf2c7751, v18
	v_add_f32_e32 v6, v7, v6
	v_mov_b32_e32 v7, v185
	;; [unrolled: 3-line block ×4, first 2 shown]
	v_fmac_f32_e32 v7, 0xbf7ee86f, v20
	v_mul_f32_e32 v188, 0x3f6eb680, v92
	v_add_f32_e32 v6, v7, v6
	v_mov_b32_e32 v7, v188
	v_fmac_f32_e32 v7, 0x3eb8f4ab, v14
	v_mul_f32_e32 v189, 0xbf1a4643, v93
	v_add_f32_e32 v6, v7, v6
	v_mov_b32_e32 v7, v189
	v_fmac_f32_e32 v7, 0x3f4c4adb, v12
	v_add_f32_e32 v7, v7, v6
	v_mov_b32_e32 v6, v190
	v_fmac_f32_e32 v6, 0xbe8c1d8e, v13
	v_mov_b32_e32 v8, v191
	v_add_f32_e32 v6, v252, v6
	v_fmac_f32_e32 v8, 0xbf59a7d5, v15
	v_add_f32_e32 v6, v8, v6
	v_mov_b32_e32 v8, v192
	v_fmac_f32_e32 v8, 0x3f3d2fb0, v21
	v_add_f32_e32 v6, v8, v6
	v_mov_b32_e32 v8, v193
	;; [unrolled: 3-line block ×4, first 2 shown]
	v_fmac_f32_e32 v8, 0x3dbcf732, v25
	v_mul_f32_e32 v196, 0xbeb8f4ab, v136
	v_add_f32_e32 v6, v8, v6
	v_mov_b32_e32 v8, v196
	v_fmac_f32_e32 v8, 0x3f6eb680, v26
	v_mul_f32_e32 v197, 0xbf4c4adb, v137
	v_add_f32_e32 v6, v8, v6
	v_mov_b32_e32 v8, v197
	v_add_f32_e32 v35, v71, v35
	v_fmac_f32_e32 v8, 0xbf1a4643, v27
	v_add_f32_e32 v35, v85, v35
	v_add_f32_e32 v6, v8, v6
	v_mov_b32_e32 v8, v198
	v_add_f32_e32 v35, v81, v35
	v_fmac_f32_e32 v8, 0x3f7ee86f, v16
	v_mov_b32_e32 v9, v199
	v_add_f32_e32 v35, v68, v35
	v_add_f32_e32 v8, v253, v8
	v_fmac_f32_e32 v9, 0x3e3c28d5, v17
	v_add_f32_e32 v35, v59, v35
	v_add_f32_e32 v8, v9, v8
	v_mov_b32_e32 v9, v200
	v_add_f32_e32 v35, v53, v35
	v_fmac_f32_e32 v9, 0xbf763a35, v18
	v_add_f32_e32 v35, v48, v35
	v_add_f32_e32 v8, v9, v8
	v_mov_b32_e32 v9, v201
	;; [unrolled: 5-line block ×3, first 2 shown]
	v_add_f32_e32 v35, v33, v35
	v_add_f32_e32 v33, v252, v34
	v_fmac_f32_e32 v9, 0x3f65296c, v22
	v_add_f32_e32 v33, v37, v33
	v_add_f32_e32 v8, v9, v8
	v_mov_b32_e32 v9, v203
	v_add_f32_e32 v33, v42, v33
	v_fmac_f32_e32 v9, 0x3f06c442, v20
	v_mul_f32_e32 v204, 0xbf1a4643, v92
	v_add_f32_e32 v33, v46, v33
	v_add_f32_e32 v8, v9, v8
	v_mov_b32_e32 v9, v204
	v_add_f32_e32 v33, v52, v33
	v_fmac_f32_e32 v9, 0xbf4c4adb, v14
	v_mul_f32_e32 v205, 0x3f3d2fb0, v93
	v_add_f32_e32 v33, v57, v33
	v_add_f32_e32 v8, v9, v8
	v_mov_b32_e32 v9, v205
	v_add_f32_e32 v33, v64, v33
	v_fmac_f32_e32 v9, 0xbf2c7751, v12
	v_add_f32_e32 v33, v73, v33
	v_add_f32_e32 v9, v9, v8
	v_mov_b32_e32 v8, v206
	v_add_f32_e32 v33, v74, v33
	v_fmac_f32_e32 v8, 0x3dbcf732, v13
	v_add_f32_e32 v33, v65, v33
	v_add_f32_e32 v8, v252, v8
	v_add_f32_e32 v33, v56, v33
	v_add_f32_e32 v8, v10, v8
	v_mov_b32_e32 v10, v208
	v_add_f32_e32 v33, v49, v33
	v_fmac_f32_e32 v10, 0xbe8c1d8e, v21
	v_add_f32_e32 v33, v44, v33
	v_add_f32_e32 v8, v10, v8
	v_mov_b32_e32 v10, v209
	v_add_f32_e32 v33, v39, v33
	v_fmac_f32_e32 v10, 0x3f6eb680, v23
	v_add_f32_e32 v29, v29, v33
	v_add_f32_e32 v8, v10, v8
	v_mov_b32_e32 v10, v210
	v_add_f32_e32 v34, v31, v29
	v_add_f32_e32 v29, v253, v32
	v_fmac_f32_e32 v10, 0x3ee437d1, v24
	v_add_f32_e32 v29, v30, v29
	v_add_f32_e32 v8, v10, v8
	v_mov_b32_e32 v10, v211
	v_add_f32_e32 v28, v28, v29
	v_fmac_f32_e32 v10, 0xbf59a7d5, v25
	v_mul_f32_e32 v212, 0x3f4c4adb, v136
	v_add_f32_e32 v28, v38, v28
	v_add_f32_e32 v8, v10, v8
	v_mov_b32_e32 v10, v212
	v_add_f32_e32 v28, v43, v28
	v_fmac_f32_e32 v10, 0xbf1a4643, v26
	v_mul_f32_e32 v213, 0x3f2c7751, v137
	v_add_f32_e32 v28, v47, v28
	v_fmac_f32_e32 v51, 0xbf763a35, v14
	v_add_f32_e32 v8, v10, v8
	v_mov_b32_e32 v10, v213
	v_add_f32_e32 v28, v51, v28
	v_fmac_f32_e32 v54, 0x3f7ee86f, v12
	v_fmac_f32_e32 v10, 0x3f3d2fb0, v27
	v_add_f32_e32 v29, v54, v28
	v_fma_f32 v28, v13, s15, -v60
	v_add_f32_e32 v8, v10, v8
	v_mov_b32_e32 v10, v214
	v_add_f32_e32 v28, v252, v28
	v_fma_f32 v30, v15, s2, -v62
	v_fmac_f32_e32 v10, 0x3f65296c, v16
	v_add_f32_e32 v28, v30, v28
	v_fma_f32 v30, v21, s14, -v66
	v_add_f32_e32 v10, v253, v10
	v_add_f32_e32 v28, v30, v28
	v_fma_f32 v30, v23, s3, -v67
	v_add_f32_e32 v10, v11, v10
	v_mov_b32_e32 v11, v216
	v_add_f32_e32 v28, v30, v28
	v_fma_f32 v30, v24, s13, -v69
	v_fmac_f32_e32 v11, 0xbe3c28d5, v18
	v_add_f32_e32 v28, v30, v28
	v_fma_f32 v30, v25, s4, -v72
	v_add_f32_e32 v10, v11, v10
	v_mov_b32_e32 v11, v217
	v_add_f32_e32 v28, v30, v28
	v_fma_f32 v30, v26, s12, -v75
	v_fmac_f32_e32 v11, 0xbf763a35, v19
	v_add_f32_e32 v28, v30, v28
	v_fma_f32 v30, v27, s5, -v76
	v_fmac_f32_e32 v77, 0xbf06c442, v16
	v_add_f32_e32 v10, v11, v10
	v_mov_b32_e32 v11, v218
	v_add_f32_e32 v28, v30, v28
	v_add_f32_e32 v30, v253, v77
	v_fmac_f32_e32 v78, 0x3f65296c, v17
	v_fmac_f32_e32 v11, 0xbf2c7751, v22
	v_add_f32_e32 v30, v78, v30
	v_fmac_f32_e32 v80, 0xbf7ee86f, v18
	v_add_f32_e32 v10, v11, v10
	v_mov_b32_e32 v11, v219
	v_add_f32_e32 v30, v80, v30
	v_fmac_f32_e32 v82, 0x3f4c4adb, v19
	v_fmac_f32_e32 v11, 0x3eb8f4ab, v20
	v_mul_f32_e32 v220, 0x3dbcf732, v92
	v_add_f32_e32 v30, v82, v30
	v_fmac_f32_e32 v83, 0xbeb8f4ab, v22
	v_add_f32_e32 v10, v11, v10
	v_mov_b32_e32 v11, v220
	v_add_f32_e32 v30, v83, v30
	v_fmac_f32_e32 v84, 0xbe3c28d5, v20
	v_fmac_f32_e32 v11, 0x3f7ee86f, v14
	v_mul_f32_e32 v221, 0xbf59a7d5, v93
	v_add_f32_e32 v30, v84, v30
	v_fmac_f32_e32 v86, 0x3f2c7751, v14
	v_add_f32_e32 v10, v11, v10
	v_mov_b32_e32 v11, v221
	v_add_f32_e32 v30, v86, v30
	v_fmac_f32_e32 v87, 0xbf763a35, v12
	v_fmac_f32_e32 v11, 0x3f06c442, v12
	v_add_f32_e32 v31, v87, v30
	v_fma_f32 v30, v13, s14, -v138
	v_add_f32_e32 v11, v11, v10
	v_mov_b32_e32 v10, v222
	v_add_f32_e32 v30, v252, v30
	v_fma_f32 v32, v15, s4, -v139
	v_fmac_f32_e32 v10, 0x3ee437d1, v13
	v_add_f32_e32 v30, v32, v30
	v_fma_f32 v32, v21, s5, -v144
	v_add_f32_e32 v10, v252, v10
	v_add_f32_e32 v30, v32, v30
	v_fma_f32 v32, v23, s13, -v145
	v_add_f32_e32 v10, v88, v10
	v_mov_b32_e32 v88, v224
	v_add_f32_e32 v30, v32, v30
	v_fma_f32 v32, v24, s2, -v146
	v_fmac_f32_e32 v88, 0xbf7ba420, v21
	v_add_f32_e32 v30, v32, v30
	v_fma_f32 v32, v25, s15, -v147
	v_add_f32_e32 v10, v88, v10
	v_mov_b32_e32 v88, v225
	v_add_f32_e32 v30, v32, v30
	v_fma_f32 v32, v26, s3, -v164
	v_fmac_f32_e32 v88, 0xbe8c1d8e, v23
	v_add_f32_e32 v30, v32, v30
	v_fma_f32 v32, v27, s12, -v165
	v_fmac_f32_e32 v166, 0xbf4c4adb, v16
	v_add_f32_e32 v10, v88, v10
	v_mov_b32_e32 v88, v226
	v_add_f32_e32 v30, v32, v30
	v_add_f32_e32 v32, v253, v166
	v_fmac_f32_e32 v167, 0x3f763a35, v17
	v_fmac_f32_e32 v88, 0x3f3d2fb0, v24
	v_add_f32_e32 v32, v167, v32
	v_fmac_f32_e32 v168, 0xbeb8f4ab, v18
	v_add_f32_e32 v10, v88, v10
	v_mov_b32_e32 v88, v227
	v_add_f32_e32 v32, v168, v32
	v_fmac_f32_e32 v169, 0xbf06c442, v19
	v_fmac_f32_e32 v88, 0x3f6eb680, v25
	v_mul_f32_e32 v228, 0xbf7ee86f, v136
	v_add_f32_e32 v32, v169, v32
	v_fmac_f32_e32 v170, 0x3f7ee86f, v22
	v_add_f32_e32 v10, v88, v10
	v_mov_b32_e32 v88, v228
	v_add_f32_e32 v32, v170, v32
	v_fmac_f32_e32 v171, 0xbf2c7751, v20
	v_fmac_f32_e32 v88, 0x3dbcf732, v26
	v_mul_f32_e32 v229, 0xbf06c442, v137
	v_add_f32_e32 v32, v171, v32
	v_fmac_f32_e32 v172, 0xbe3c28d5, v14
	v_add_f32_e32 v10, v88, v10
	v_mov_b32_e32 v88, v229
	v_add_f32_e32 v32, v172, v32
	v_fmac_f32_e32 v173, 0x3f65296c, v12
	v_fmac_f32_e32 v88, 0xbf59a7d5, v27
	v_add_f32_e32 v33, v173, v32
	v_fma_f32 v32, v13, s13, -v174
	v_add_f32_e32 v10, v88, v10
	v_mov_b32_e32 v88, v230
	v_add_f32_e32 v32, v252, v32
	v_fma_f32 v36, v15, s12, -v175
	v_fmac_f32_e32 v88, 0x3f2c7751, v16
	v_add_f32_e32 v32, v36, v32
	v_fma_f32 v36, v21, s2, -v176
	v_add_f32_e32 v88, v253, v88
	v_add_f32_e32 v32, v36, v32
	v_fma_f32 v36, v23, s14, -v177
	v_add_f32_e32 v88, v89, v88
	v_mov_b32_e32 v89, v232
	v_add_f32_e32 v32, v36, v32
	v_fma_f32 v36, v24, s5, -v178
	v_fmac_f32_e32 v89, 0x3f4c4adb, v18
	v_add_f32_e32 v32, v36, v32
	v_fma_f32 v36, v25, s3, -v179
	v_add_f32_e32 v88, v89, v88
	v_mov_b32_e32 v89, v233
	v_add_f32_e32 v32, v36, v32
	v_fma_f32 v36, v26, s15, -v180
	v_fmac_f32_e32 v89, 0x3e3c28d5, v19
	v_add_f32_e32 v32, v36, v32
	v_fma_f32 v36, v27, s4, -v181
	v_fmac_f32_e32 v182, 0xbf763a35, v16
	v_add_f32_e32 v88, v89, v88
	v_mov_b32_e32 v89, v234
	v_add_f32_e32 v32, v36, v32
	v_add_f32_e32 v36, v253, v182
	v_fmac_f32_e32 v183, 0x3f06c442, v17
	v_fmac_f32_e32 v89, 0xbf06c442, v22
	v_add_f32_e32 v36, v183, v36
	v_fmac_f32_e32 v184, 0x3f2c7751, v18
	v_add_f32_e32 v88, v89, v88
	v_mov_b32_e32 v89, v235
	v_add_f32_e32 v36, v184, v36
	v_fmac_f32_e32 v185, 0xbf65296c, v19
	v_fmac_f32_e32 v89, 0xbf763a35, v20
	v_mul_f32_e32 v236, 0x3ee437d1, v92
	v_add_f32_e32 v36, v185, v36
	v_fmac_f32_e32 v186, 0xbe3c28d5, v22
	v_add_f32_e32 v88, v89, v88
	v_mov_b32_e32 v89, v236
	v_add_f32_e32 v36, v186, v36
	v_fmac_f32_e32 v187, 0x3f7ee86f, v20
	v_fmac_f32_e32 v89, 0xbf65296c, v14
	v_mul_f32_e32 v237, 0x3f6eb680, v93
	v_add_f32_e32 v36, v187, v36
	v_fmac_f32_e32 v188, 0xbeb8f4ab, v14
	v_add_f32_e32 v88, v89, v88
	v_mov_b32_e32 v89, v237
	v_add_f32_e32 v36, v188, v36
	v_fmac_f32_e32 v189, 0xbf4c4adb, v12
	v_fmac_f32_e32 v89, 0xbeb8f4ab, v12
	v_add_f32_e32 v37, v189, v36
	v_fma_f32 v36, v13, s12, -v190
	v_add_f32_e32 v89, v89, v88
	v_mov_b32_e32 v88, v238
	v_add_f32_e32 v36, v252, v36
	v_fma_f32 v38, v15, s14, -v191
	v_fmac_f32_e32 v88, 0x3f3d2fb0, v13
	v_add_f32_e32 v36, v38, v36
	v_fma_f32 v38, v21, s3, -v192
	v_add_f32_e32 v88, v252, v88
	v_add_f32_e32 v36, v38, v36
	v_fma_f32 v38, v23, s4, -v193
	v_add_f32_e32 v88, v240, v88
	v_mul_f32_e32 v240, 0xbf4c4adb, v120
	v_add_f32_e32 v36, v38, v36
	v_fma_f32 v38, v24, s15, -v194
	v_mov_b32_e32 v241, v240
	v_add_f32_e32 v36, v38, v36
	v_fma_f32 v38, v25, s5, -v195
	v_fmac_f32_e32 v241, 0xbf1a4643, v21
	v_add_f32_e32 v36, v38, v36
	v_fma_f32 v38, v26, s2, -v196
	v_add_f32_e32 v88, v241, v88
	v_mul_f32_e32 v241, 0xbe3c28d5, v121
	v_add_f32_e32 v36, v38, v36
	v_fma_f32 v38, v27, s13, -v197
	v_fmac_f32_e32 v198, 0xbf7ee86f, v16
	v_mov_b32_e32 v242, v241
	v_add_f32_e32 v36, v38, v36
	v_add_f32_e32 v38, v253, v198
	v_fmac_f32_e32 v199, 0xbe3c28d5, v17
	v_fmac_f32_e32 v242, 0xbf7ba420, v23
	v_add_f32_e32 v38, v199, v38
	v_fmac_f32_e32 v200, 0x3f763a35, v18
	v_add_f32_e32 v88, v242, v88
	v_mul_f32_e32 v242, 0x3f06c442, v122
	v_add_f32_e32 v38, v200, v38
	v_fmac_f32_e32 v201, 0x3eb8f4ab, v19
	v_mov_b32_e32 v243, v242
	v_add_f32_e32 v38, v201, v38
	v_fmac_f32_e32 v202, 0xbf65296c, v22
	v_fmac_f32_e32 v243, 0xbf59a7d5, v24
	v_add_f32_e32 v38, v202, v38
	v_fmac_f32_e32 v203, 0xbf06c442, v20
	v_add_f32_e32 v88, v243, v88
	v_mul_f32_e32 v243, 0x3f763a35, v123
	v_add_f32_e32 v38, v203, v38
	v_fmac_f32_e32 v204, 0x3f4c4adb, v14
	v_mov_b32_e32 v244, v243
	v_add_f32_e32 v38, v204, v38
	v_fmac_f32_e32 v205, 0x3f2c7751, v12
	v_fmac_f32_e32 v244, 0xbe8c1d8e, v25
	v_add_f32_e32 v39, v205, v38
	v_fma_f32 v38, v13, s5, -v206
	v_add_f32_e32 v88, v244, v88
	v_mul_f32_e32 v244, 0x3f65296c, v136
	v_add_f32_e32 v38, v252, v38
	v_mov_b32_e32 v245, v244
	v_add_f32_e32 v38, v40, v38
	v_fma_f32 v40, v21, s12, -v208
	v_fmac_f32_e32 v245, 0x3ee437d1, v26
	v_add_f32_e32 v38, v40, v38
	v_fma_f32 v40, v23, s2, -v209
	v_add_f32_e32 v88, v245, v88
	v_mul_f32_e32 v245, 0x3eb8f4ab, v137
	v_add_f32_e32 v38, v40, v38
	v_fma_f32 v40, v24, s4, -v210
	v_mov_b32_e32 v246, v245
	v_add_f32_e32 v38, v40, v38
	v_fma_f32 v40, v25, s14, -v211
	v_fmac_f32_e32 v246, 0x3f6eb680, v27
	v_mul_f32_e32 v58, 0x3f6eb680, v58
	v_add_f32_e32 v38, v40, v38
	v_fma_f32 v40, v26, s13, -v212
	v_add_f32_e32 v88, v246, v88
	v_mov_b32_e32 v246, v58
	v_mul_f32_e32 v63, 0x3f3d2fb0, v63
	v_add_f32_e32 v38, v40, v38
	v_fma_f32 v40, v27, s3, -v213
	v_fmac_f32_e32 v214, 0xbf65296c, v16
	v_fmac_f32_e32 v246, 0x3eb8f4ab, v16
	v_mov_b32_e32 v247, v63
	v_add_f32_e32 v38, v40, v38
	v_add_f32_e32 v40, v253, v214
	;; [unrolled: 1-line block ×3, first 2 shown]
	v_fmac_f32_e32 v247, 0x3f2c7751, v17
	v_add_f32_e32 v40, v215, v40
	v_fmac_f32_e32 v216, 0x3e3c28d5, v18
	v_add_f32_e32 v246, v247, v246
	v_mov_b32_e32 v247, v70
	v_add_f32_e32 v40, v216, v40
	v_fmac_f32_e32 v217, 0x3f763a35, v19
	v_fmac_f32_e32 v247, 0x3f65296c, v18
	v_add_f32_e32 v40, v217, v40
	v_fmac_f32_e32 v218, 0x3f2c7751, v22
	v_add_f32_e32 v246, v247, v246
	v_mov_b32_e32 v247, v79
	v_add_f32_e32 v40, v218, v40
	v_fmac_f32_e32 v219, 0xbeb8f4ab, v20
	v_fmac_f32_e32 v247, 0x3f7ee86f, v19
	v_add_f32_e32 v40, v219, v40
	v_fmac_f32_e32 v220, 0xbf7ee86f, v14
	v_add_f32_e32 v246, v247, v246
	v_mul_f32_e32 v247, 0xbe8c1d8e, v90
	v_add_f32_e32 v40, v220, v40
	v_fmac_f32_e32 v221, 0xbf06c442, v12
	v_mov_b32_e32 v90, v247
	v_add_f32_e32 v41, v221, v40
	v_fma_f32 v40, v13, s4, -v222
	v_fmac_f32_e32 v90, 0x3f763a35, v22
	v_add_f32_e32 v40, v252, v40
	v_fma_f32 v42, v15, s13, -v223
	v_add_f32_e32 v90, v90, v246
	v_mul_f32_e32 v246, 0xbf1a4643, v91
	v_add_f32_e32 v40, v42, v40
	v_fma_f32 v42, v21, s15, -v224
	v_mov_b32_e32 v91, v246
	v_add_f32_e32 v40, v42, v40
	v_fma_f32 v42, v23, s12, -v225
	v_fmac_f32_e32 v91, 0x3f4c4adb, v20
	v_mul_f32_e32 v92, 0xbf59a7d5, v92
	v_add_f32_e32 v40, v42, v40
	v_fma_f32 v42, v24, s3, -v226
	v_add_f32_e32 v90, v91, v90
	v_mov_b32_e32 v91, v92
	v_add_f32_e32 v40, v42, v40
	v_fma_f32 v42, v25, s2, -v227
	v_fmac_f32_e32 v91, 0x3f06c442, v14
	v_mul_f32_e32 v93, 0xbf7ba420, v93
	v_add_f32_e32 v40, v42, v40
	v_fma_f32 v42, v26, s5, -v228
	v_add_f32_e32 v90, v91, v90
	v_mov_b32_e32 v91, v93
	v_add_f32_e32 v40, v42, v40
	v_fma_f32 v42, v27, s14, -v229
	v_fmac_f32_e32 v230, 0xbf2c7751, v16
	v_fmac_f32_e32 v91, 0x3e3c28d5, v12
	v_add_f32_e32 v40, v42, v40
	v_add_f32_e32 v42, v253, v230
	;; [unrolled: 1-line block ×3, first 2 shown]
	v_mov_b32_e32 v90, v94
	v_add_f32_e32 v42, v231, v42
	v_fmac_f32_e32 v232, 0xbf4c4adb, v18
	v_fmac_f32_e32 v90, 0x3f6eb680, v13
	v_add_f32_e32 v42, v232, v42
	v_fmac_f32_e32 v233, 0xbe3c28d5, v19
	v_add_f32_e32 v90, v252, v90
	v_mul_f32_e32 v120, 0xbf65296c, v120
	v_add_f32_e32 v42, v233, v42
	v_fmac_f32_e32 v234, 0x3f06c442, v22
	v_add_f32_e32 v90, v248, v90
	v_mov_b32_e32 v248, v120
	v_add_f32_e32 v42, v234, v42
	v_fmac_f32_e32 v235, 0x3f763a35, v20
	v_fmac_f32_e32 v248, 0x3ee437d1, v21
	v_mul_f32_e32 v121, 0xbf7ee86f, v121
	v_add_f32_e32 v42, v235, v42
	v_fmac_f32_e32 v236, 0x3f65296c, v14
	v_add_f32_e32 v90, v248, v90
	v_mov_b32_e32 v248, v121
	v_add_f32_e32 v42, v236, v42
	v_fmac_f32_e32 v237, 0x3eb8f4ab, v12
	v_fmac_f32_e32 v93, 0xbe3c28d5, v12
	v_fma_f32 v12, v13, s2, -v94
	v_fmac_f32_e32 v248, 0x3dbcf732, v23
	v_mul_f32_e32 v122, 0xbf763a35, v122
	v_add_f32_e32 v43, v237, v42
	v_fma_f32 v42, v13, s3, -v238
	v_add_f32_e32 v12, v252, v12
	v_fma_f32 v13, v15, s3, -v95
	v_add_f32_e32 v90, v248, v90
	v_mov_b32_e32 v248, v122
	v_add_f32_e32 v12, v13, v12
	v_fma_f32 v13, v21, s4, -v120
	v_fmac_f32_e32 v248, 0xbe8c1d8e, v24
	v_mul_f32_e32 v123, 0xbf4c4adb, v123
	v_add_f32_e32 v12, v13, v12
	v_fma_f32 v13, v23, s5, -v121
	v_add_f32_e32 v90, v248, v90
	v_mov_b32_e32 v248, v123
	v_fmac_f32_e32 v58, 0xbeb8f4ab, v16
	v_add_f32_e32 v12, v13, v12
	v_fma_f32 v13, v24, s12, -v122
	v_fmac_f32_e32 v248, 0xbf1a4643, v25
	v_mul_f32_e32 v136, 0xbf06c442, v136
	v_add_f32_e32 v42, v252, v42
	v_fma_f32 v44, v15, s5, -v239
	v_add_f32_e32 v16, v253, v58
	v_fmac_f32_e32 v63, 0xbf2c7751, v17
	v_add_f32_e32 v12, v13, v12
	v_fma_f32 v13, v25, s13, -v123
	v_add_f32_e32 v90, v248, v90
	v_mov_b32_e32 v248, v136
	v_mul_f32_e32 v137, 0xbe3c28d5, v137
	v_add_f32_e32 v42, v44, v42
	v_fma_f32 v44, v21, s13, -v240
	v_add_f32_e32 v16, v63, v16
	v_fmac_f32_e32 v70, 0xbf65296c, v18
	v_add_f32_e32 v12, v13, v12
	v_fma_f32 v13, v26, s14, -v136
	v_fmac_f32_e32 v248, 0xbf59a7d5, v26
	v_add_f32_e32 v42, v44, v42
	v_fma_f32 v44, v23, s15, -v241
	v_add_f32_e32 v16, v70, v16
	v_fmac_f32_e32 v79, 0xbf7ee86f, v19
	v_add_f32_e32 v12, v13, v12
	v_fma_f32 v13, v27, s15, -v137
	v_add_f32_e32 v90, v248, v90
	v_mov_b32_e32 v248, v137
	v_add_f32_e32 v42, v44, v42
	v_fma_f32 v44, v24, s14, -v242
	v_add_f32_e32 v16, v79, v16
	v_fmac_f32_e32 v247, 0xbf763a35, v22
	v_add_f32_e32 v13, v13, v12
	v_and_b32_e32 v12, 0xff, v250
	v_fmac_f32_e32 v248, 0xbf7ba420, v27
	v_add_f32_e32 v42, v44, v42
	v_fma_f32 v44, v25, s12, -v243
	v_add_f32_e32 v16, v247, v16
	v_fmac_f32_e32 v246, 0xbf4c4adb, v20
	v_lshl_add_u32 v12, v12, 3, v249
	v_add_f32_e32 v90, v248, v90
	v_add_f32_e32 v42, v44, v42
	v_fma_f32 v44, v26, s4, -v244
	v_add_f32_e32 v16, v246, v16
	v_fmac_f32_e32 v92, 0xbf06c442, v14
	v_add_u32_e32 v15, 0x800, v12
	v_add_f32_e32 v42, v44, v42
	v_fma_f32 v44, v27, s2, -v245
	v_add_f32_e32 v14, v92, v16
	ds_write2_b64 v15, v[34:35], v[90:91] offset0:220 offset1:227
	ds_write2_b64 v15, v[88:89], v[10:11] offset0:234 offset1:241
	;; [unrolled: 1-line block ×3, first 2 shown]
	v_add_u32_e32 v6, 0x1000, v12
	v_add_f32_e32 v42, v44, v42
	v_add_f32_e32 v14, v93, v14
	ds_write2_b64 v6, v[4:5], v[2:3] offset0:6 offset1:13
	ds_write2_b64 v6, v[0:1], v[28:29] offset0:20 offset1:27
	;; [unrolled: 1-line block ×5, first 2 shown]
	ds_write_b64 v12, v[13:14] offset:4704
.LBB0_9:
	s_or_b64 exec, exec, s[0:1]
	buffer_load_dword v121, off, s[20:23], 0 offset:164 ; 4-byte Folded Reload
	buffer_load_dword v122, off, s[20:23], 0 offset:168 ; 4-byte Folded Reload
	s_waitcnt lgkmcnt(0)
	; wave barrier
	s_waitcnt lgkmcnt(0)
	ds_read2_b64 v[12:15], v255 offset1:17
	ds_read2_b64 v[0:3], v255 offset0:102 offset1:119
	ds_read2_b64 v[18:21], v255 offset0:238 offset1:255
	v_add_u32_e32 v24, 0x800, v255
	ds_read2_b64 v[28:31], v24 offset0:84 offset1:101
	ds_read2_b64 v[32:35], v24 offset0:220 offset1:237
	;; [unrolled: 1-line block ×6, first 2 shown]
	v_add_u32_e32 v26, 0xc00, v255
	s_waitcnt lgkmcnt(7)
	v_mul_f32_e32 v76, v101, v3
	v_fmac_f32_e32 v76, v100, v2
	v_mul_f32_e32 v2, v101, v2
	v_fma_f32 v77, v100, v3, -v2
	s_waitcnt lgkmcnt(6)
	v_mul_f32_e32 v2, v103, v18
	v_fma_f32 v79, v102, v19, -v2
	s_waitcnt lgkmcnt(5)
	;; [unrolled: 3-line block ×4, first 2 shown]
	v_mul_f32_e32 v2, v109, v36
	v_fma_f32 v85, v108, v37, -v2
	v_mul_f32_e32 v2, v111, v20
	v_fma_f32 v87, v110, v21, -v2
	s_waitcnt lgkmcnt(2)
	v_mul_f32_e32 v2, v105, v40
	v_fma_f32 v89, v104, v41, -v2
	v_mul_f32_e32 v2, v107, v34
	v_fma_f32 v90, v106, v35, -v2
	;; [unrolled: 2-line block ×3, first 2 shown]
	s_waitcnt lgkmcnt(0)
	v_mul_f32_e32 v2, v119, v44
	ds_read2_b64 v[48:51], v26 offset0:126 offset1:143
	ds_read2_b64 v[52:55], v255 offset0:170 offset1:187
	;; [unrolled: 1-line block ×5, first 2 shown]
	v_mul_f32_e32 v80, v97, v31
	v_fma_f32 v94, v118, v45, -v2
	v_mul_f32_e32 v2, v113, v42
	v_fmac_f32_e32 v80, v96, v30
	v_mul_f32_e32 v82, v99, v33
	v_fma_f32 v96, v112, v43, -v2
	s_waitcnt lgkmcnt(4)
	v_mul_f32_e32 v2, v115, v48
	v_fmac_f32_e32 v82, v98, v32
	v_fma_f32 v98, v114, v49, -v2
	s_waitcnt lgkmcnt(3)
	v_mul_f32_e32 v2, v129, v52
	v_mul_f32_e32 v78, v103, v19
	v_fma_f32 v100, v128, v53, -v2
	v_mul_f32_e32 v2, v131, v46
	v_fmac_f32_e32 v78, v102, v18
	v_mul_f32_e32 v88, v105, v41
	v_fma_f32 v102, v130, v47, -v2
	s_waitcnt lgkmcnt(2)
	v_mul_f32_e32 v2, v125, v56
	v_fmac_f32_e32 v88, v104, v40
	v_fma_f32 v104, v124, v57, -v2
	v_mul_f32_e32 v2, v127, v50
	v_add_u32_e32 v25, 0x1000, v255
	v_fma_f32 v105, v126, v51, -v2
	v_mul_f32_e32 v2, v141, v54
	ds_read2_b64 v[64:67], v25 offset0:32 offset1:49
	ds_read2_b64 v[68:71], v255 offset0:204 offset1:221
	;; [unrolled: 1-line block ×3, first 2 shown]
	ds_read_b64 v[22:23], v255 offset:4624
	v_mul_f32_e32 v40, v107, v35
	v_fma_f32 v107, v140, v55, -v2
	s_waitcnt lgkmcnt(4)
	v_mul_f32_e32 v2, v143, v60
	v_mul_f32_e32 v84, v109, v37
	v_fma_f32 v109, v142, v61, -v2
	v_mul_f32_e32 v2, v133, v58
	v_mul_f32_e32 v86, v111, v21
	v_fma_f32 v111, v132, v59, -v2
	s_waitcnt lgkmcnt(3)
	v_mul_f32_e32 v2, v135, v64
	v_mul_f32_e32 v95, v113, v43
	v_fma_f32 v113, v134, v65, -v2
	s_waitcnt lgkmcnt(2)
	v_mul_f32_e32 v2, v153, v68
	v_mul_f32_e32 v97, v115, v49
	v_fma_f32 v115, v152, v69, -v2
	v_mul_f32_e32 v2, v155, v62
	v_mul_f32_e32 v91, v117, v39
	v_fma_f32 v117, v154, v63, -v2
	s_waitcnt lgkmcnt(1)
	v_mul_f32_e32 v2, v149, v72
	v_mul_f32_e32 v93, v119, v45
	v_fma_f32 v119, v148, v73, -v2
	v_mul_f32_e32 v2, v151, v66
	v_fma_f32 v120, v150, v67, -v2
	;; [unrolled: 2-line block ×3, first 2 shown]
	v_mul_f32_e32 v32, v163, v29
	v_mul_f32_e32 v2, v163, v28
	v_fmac_f32_e32 v32, v162, v28
	v_fma_f32 v28, v162, v29, -v2
	v_mul_f32_e32 v2, v157, v74
	v_fma_f32 v29, v156, v75, -v2
	s_waitcnt lgkmcnt(0)
	v_mul_f32_e32 v2, v159, v22
	v_fma_f32 v30, v158, v23, -v2
	v_add_f32_e32 v2, v12, v76
	v_add_f32_e32 v2, v2, v78
	;; [unrolled: 1-line block ×5, first 2 shown]
	v_fma_f32 v2, -0.5, v2, v12
	v_fmac_f32_e32 v86, v110, v20
	v_fmac_f32_e32 v40, v106, v34
	v_mul_f32_e32 v34, v159, v23
	v_sub_f32_e32 v3, v77, v83
	v_mov_b32_e32 v20, v2
	v_fmac_f32_e32 v34, v158, v22
	v_fmac_f32_e32 v20, 0xbf737871, v3
	v_sub_f32_e32 v19, v79, v81
	v_sub_f32_e32 v21, v76, v78
	;; [unrolled: 1-line block ×3, first 2 shown]
	v_fmac_f32_e32 v2, 0x3f737871, v3
	v_fmac_f32_e32 v20, 0xbf167918, v19
	v_add_f32_e32 v21, v21, v22
	v_fmac_f32_e32 v2, 0x3f167918, v19
	v_fmac_f32_e32 v20, 0x3e9e377a, v21
	;; [unrolled: 1-line block ×3, first 2 shown]
	v_add_f32_e32 v21, v76, v82
	v_fma_f32 v12, -0.5, v21, v12
	v_mov_b32_e32 v22, v12
	v_fmac_f32_e32 v22, 0x3f737871, v19
	v_fmac_f32_e32 v12, 0xbf737871, v19
	;; [unrolled: 1-line block ×4, first 2 shown]
	v_add_f32_e32 v3, v13, v77
	v_add_f32_e32 v3, v3, v79
	;; [unrolled: 1-line block ×3, first 2 shown]
	v_sub_f32_e32 v21, v78, v76
	v_sub_f32_e32 v23, v80, v82
	v_add_f32_e32 v19, v3, v83
	v_add_f32_e32 v3, v79, v81
	;; [unrolled: 1-line block ×3, first 2 shown]
	v_fma_f32 v3, -0.5, v3, v13
	v_fmac_f32_e32 v22, 0x3e9e377a, v21
	v_fmac_f32_e32 v12, 0x3e9e377a, v21
	v_sub_f32_e32 v35, v76, v82
	v_mov_b32_e32 v21, v3
	v_fmac_f32_e32 v84, v108, v36
	v_fmac_f32_e32 v21, 0x3f737871, v35
	v_sub_f32_e32 v36, v78, v80
	v_sub_f32_e32 v23, v77, v79
	;; [unrolled: 1-line block ×3, first 2 shown]
	v_fmac_f32_e32 v3, 0xbf737871, v35
	v_fmac_f32_e32 v21, 0x3f167918, v36
	v_add_f32_e32 v23, v23, v37
	v_fmac_f32_e32 v3, 0xbf167918, v36
	v_fmac_f32_e32 v21, 0x3e9e377a, v23
	;; [unrolled: 1-line block ×3, first 2 shown]
	v_add_f32_e32 v23, v77, v83
	v_fma_f32 v13, -0.5, v23, v13
	v_mov_b32_e32 v23, v13
	v_fmac_f32_e32 v91, v116, v38
	v_fmac_f32_e32 v23, 0xbf737871, v36
	v_sub_f32_e32 v37, v79, v77
	v_sub_f32_e32 v38, v81, v83
	v_fmac_f32_e32 v13, 0x3f737871, v36
	v_fmac_f32_e32 v23, 0x3f167918, v35
	v_add_f32_e32 v37, v37, v38
	v_fmac_f32_e32 v13, 0xbf167918, v35
	v_add_f32_e32 v36, v86, v88
	v_fmac_f32_e32 v23, 0x3e9e377a, v37
	v_fmac_f32_e32 v13, 0x3e9e377a, v37
	v_fma_f32 v37, -0.5, v36, v14
	v_sub_f32_e32 v36, v85, v90
	v_mov_b32_e32 v39, v37
	v_fmac_f32_e32 v95, v112, v42
	v_fmac_f32_e32 v39, 0xbf737871, v36
	v_sub_f32_e32 v38, v87, v89
	v_sub_f32_e32 v41, v84, v86
	;; [unrolled: 1-line block ×3, first 2 shown]
	v_fmac_f32_e32 v37, 0x3f737871, v36
	v_fmac_f32_e32 v39, 0xbf167918, v38
	v_add_f32_e32 v41, v41, v42
	v_fmac_f32_e32 v37, 0x3f167918, v38
	v_fmac_f32_e32 v39, 0x3e9e377a, v41
	;; [unrolled: 1-line block ×3, first 2 shown]
	v_add_f32_e32 v41, v84, v40
	v_add_f32_e32 v35, v14, v84
	v_fma_f32 v14, -0.5, v41, v14
	v_mov_b32_e32 v41, v14
	v_add_f32_e32 v35, v35, v86
	v_fmac_f32_e32 v41, 0x3f737871, v38
	v_fmac_f32_e32 v14, 0xbf737871, v38
	v_add_f32_e32 v38, v87, v89
	v_add_f32_e32 v35, v35, v88
	v_sub_f32_e32 v42, v86, v84
	v_sub_f32_e32 v43, v88, v40
	v_fma_f32 v38, -0.5, v38, v15
	v_add_f32_e32 v35, v35, v40
	v_fmac_f32_e32 v41, 0xbf167918, v36
	v_add_f32_e32 v42, v42, v43
	v_fmac_f32_e32 v14, 0x3f167918, v36
	v_sub_f32_e32 v43, v84, v40
	v_mov_b32_e32 v40, v38
	v_fmac_f32_e32 v93, v118, v44
	v_fmac_f32_e32 v41, 0x3e9e377a, v42
	;; [unrolled: 1-line block ×4, first 2 shown]
	v_sub_f32_e32 v44, v86, v88
	v_sub_f32_e32 v42, v85, v87
	;; [unrolled: 1-line block ×3, first 2 shown]
	v_fmac_f32_e32 v38, 0xbf737871, v43
	v_fmac_f32_e32 v40, 0x3f167918, v44
	v_add_f32_e32 v42, v42, v45
	v_fmac_f32_e32 v38, 0xbf167918, v44
	v_fmac_f32_e32 v40, 0x3e9e377a, v42
	;; [unrolled: 1-line block ×3, first 2 shown]
	v_add_f32_e32 v42, v85, v90
	v_add_f32_e32 v36, v15, v85
	v_fmac_f32_e32 v15, -0.5, v42
	v_mul_f32_e32 v101, v131, v47
	v_mov_b32_e32 v42, v15
	v_fmac_f32_e32 v101, v130, v46
	v_fmac_f32_e32 v42, 0xbf737871, v44
	v_sub_f32_e32 v45, v87, v85
	v_sub_f32_e32 v46, v89, v90
	v_fmac_f32_e32 v15, 0x3f737871, v44
	v_fmac_f32_e32 v42, 0x3f167918, v43
	v_add_f32_e32 v45, v45, v46
	v_fmac_f32_e32 v15, 0xbf167918, v43
	v_add_f32_e32 v44, v93, v95
	v_fmac_f32_e32 v42, 0x3e9e377a, v45
	v_fmac_f32_e32 v15, 0x3e9e377a, v45
	v_fma_f32 v45, -0.5, v44, v8
	v_fmac_f32_e32 v97, v114, v48
	v_sub_f32_e32 v44, v92, v98
	v_mov_b32_e32 v47, v45
	v_fmac_f32_e32 v47, 0xbf737871, v44
	v_sub_f32_e32 v46, v94, v96
	v_sub_f32_e32 v48, v91, v93
	;; [unrolled: 1-line block ×3, first 2 shown]
	v_fmac_f32_e32 v45, 0x3f737871, v44
	v_fmac_f32_e32 v47, 0xbf167918, v46
	v_add_f32_e32 v48, v48, v49
	v_fmac_f32_e32 v45, 0x3f167918, v46
	v_fmac_f32_e32 v47, 0x3e9e377a, v48
	;; [unrolled: 1-line block ×3, first 2 shown]
	v_add_f32_e32 v48, v91, v97
	v_mul_f32_e32 v103, v125, v57
	v_add_f32_e32 v43, v8, v91
	v_fma_f32 v8, -0.5, v48, v8
	v_fmac_f32_e32 v103, v124, v56
	v_mul_f32_e32 v56, v127, v51
	v_mov_b32_e32 v49, v8
	v_fmac_f32_e32 v56, v126, v50
	v_fmac_f32_e32 v49, 0x3f737871, v46
	v_sub_f32_e32 v48, v93, v91
	v_sub_f32_e32 v50, v95, v97
	v_fmac_f32_e32 v8, 0xbf737871, v46
	v_add_f32_e32 v46, v94, v96
	v_fmac_f32_e32 v49, 0xbf167918, v44
	v_add_f32_e32 v48, v48, v50
	v_fmac_f32_e32 v8, 0x3f167918, v44
	v_fma_f32 v46, -0.5, v46, v9
	v_mul_f32_e32 v99, v129, v53
	v_fmac_f32_e32 v49, 0x3e9e377a, v48
	v_fmac_f32_e32 v8, 0x3e9e377a, v48
	v_sub_f32_e32 v51, v91, v97
	v_mov_b32_e32 v48, v46
	v_fmac_f32_e32 v99, v128, v52
	v_fmac_f32_e32 v48, 0x3f737871, v51
	v_sub_f32_e32 v52, v93, v95
	v_sub_f32_e32 v50, v92, v94
	v_sub_f32_e32 v53, v98, v96
	v_fmac_f32_e32 v46, 0xbf737871, v51
	v_fmac_f32_e32 v48, 0x3f167918, v52
	v_add_f32_e32 v50, v50, v53
	v_fmac_f32_e32 v46, 0xbf167918, v52
	v_fmac_f32_e32 v48, 0x3e9e377a, v50
	;; [unrolled: 1-line block ×3, first 2 shown]
	v_add_f32_e32 v50, v92, v98
	v_add_f32_e32 v44, v9, v92
	v_fma_f32 v9, -0.5, v50, v9
	v_mul_f32_e32 v106, v141, v55
	v_mov_b32_e32 v50, v9
	v_fmac_f32_e32 v106, v140, v54
	v_fmac_f32_e32 v50, 0xbf737871, v52
	v_sub_f32_e32 v53, v94, v92
	v_sub_f32_e32 v54, v96, v98
	v_fmac_f32_e32 v9, 0x3f737871, v52
	v_fmac_f32_e32 v50, 0x3f167918, v51
	v_add_f32_e32 v53, v53, v54
	v_fmac_f32_e32 v9, 0xbf167918, v51
	v_add_f32_e32 v52, v101, v103
	v_fmac_f32_e32 v50, 0x3e9e377a, v53
	v_fmac_f32_e32 v9, 0x3e9e377a, v53
	v_fma_f32 v53, -0.5, v52, v10
	v_mul_f32_e32 v110, v133, v59
	v_sub_f32_e32 v52, v100, v105
	v_mov_b32_e32 v55, v53
	v_fmac_f32_e32 v110, v132, v58
	v_fmac_f32_e32 v55, 0xbf737871, v52
	v_sub_f32_e32 v54, v102, v104
	v_sub_f32_e32 v57, v99, v101
	;; [unrolled: 1-line block ×3, first 2 shown]
	v_fmac_f32_e32 v53, 0x3f737871, v52
	v_fmac_f32_e32 v55, 0xbf167918, v54
	v_add_f32_e32 v57, v57, v58
	v_fmac_f32_e32 v53, 0x3f167918, v54
	v_fmac_f32_e32 v55, 0x3e9e377a, v57
	;; [unrolled: 1-line block ×3, first 2 shown]
	v_add_f32_e32 v57, v99, v56
	v_add_f32_e32 v51, v10, v99
	v_fma_f32 v10, -0.5, v57, v10
	v_mov_b32_e32 v57, v10
	v_add_f32_e32 v51, v51, v101
	v_fmac_f32_e32 v57, 0x3f737871, v54
	v_fmac_f32_e32 v10, 0xbf737871, v54
	v_add_f32_e32 v54, v102, v104
	v_add_f32_e32 v51, v51, v103
	v_sub_f32_e32 v58, v101, v99
	v_sub_f32_e32 v59, v103, v56
	v_fma_f32 v54, -0.5, v54, v11
	v_mul_f32_e32 v108, v143, v61
	v_add_f32_e32 v51, v51, v56
	v_fmac_f32_e32 v57, 0xbf167918, v52
	v_add_f32_e32 v58, v58, v59
	v_fmac_f32_e32 v10, 0x3f167918, v52
	v_sub_f32_e32 v59, v99, v56
	v_mov_b32_e32 v56, v54
	v_fmac_f32_e32 v108, v142, v60
	v_fmac_f32_e32 v57, 0x3e9e377a, v58
	;; [unrolled: 1-line block ×4, first 2 shown]
	v_sub_f32_e32 v60, v101, v103
	v_sub_f32_e32 v58, v100, v102
	;; [unrolled: 1-line block ×3, first 2 shown]
	v_fmac_f32_e32 v54, 0xbf737871, v59
	v_fmac_f32_e32 v56, 0x3f167918, v60
	v_add_f32_e32 v58, v58, v61
	v_fmac_f32_e32 v54, 0xbf167918, v60
	v_fmac_f32_e32 v56, 0x3e9e377a, v58
	;; [unrolled: 1-line block ×3, first 2 shown]
	v_add_f32_e32 v58, v100, v105
	v_add_f32_e32 v52, v11, v100
	v_fmac_f32_e32 v11, -0.5, v58
	v_mul_f32_e32 v116, v155, v63
	v_mov_b32_e32 v58, v11
	v_fmac_f32_e32 v116, v154, v62
	v_fmac_f32_e32 v58, 0xbf737871, v60
	v_sub_f32_e32 v61, v102, v100
	v_sub_f32_e32 v62, v104, v105
	v_fmac_f32_e32 v11, 0x3f737871, v60
	v_fmac_f32_e32 v58, 0x3f167918, v59
	v_add_f32_e32 v61, v61, v62
	v_fmac_f32_e32 v11, 0xbf167918, v59
	v_add_f32_e32 v60, v108, v110
	v_mul_f32_e32 v112, v135, v65
	v_fmac_f32_e32 v58, 0x3e9e377a, v61
	v_fmac_f32_e32 v11, 0x3e9e377a, v61
	v_fma_f32 v61, -0.5, v60, v4
	v_fmac_f32_e32 v112, v134, v64
	v_sub_f32_e32 v60, v107, v113
	v_mov_b32_e32 v63, v61
	v_fmac_f32_e32 v63, 0xbf737871, v60
	v_sub_f32_e32 v62, v109, v111
	v_sub_f32_e32 v64, v106, v108
	;; [unrolled: 1-line block ×3, first 2 shown]
	v_fmac_f32_e32 v61, 0x3f737871, v60
	v_fmac_f32_e32 v63, 0xbf167918, v62
	v_add_f32_e32 v64, v64, v65
	v_fmac_f32_e32 v61, 0x3f167918, v62
	v_fmac_f32_e32 v63, 0x3e9e377a, v64
	;; [unrolled: 1-line block ×3, first 2 shown]
	v_add_f32_e32 v64, v106, v112
	v_mul_f32_e32 v118, v149, v73
	v_add_f32_e32 v59, v4, v106
	v_fma_f32 v4, -0.5, v64, v4
	v_fmac_f32_e32 v118, v148, v72
	v_mul_f32_e32 v72, v151, v67
	v_mov_b32_e32 v65, v4
	v_fmac_f32_e32 v72, v150, v66
	v_fmac_f32_e32 v65, 0x3f737871, v62
	v_sub_f32_e32 v64, v108, v106
	v_sub_f32_e32 v66, v110, v112
	v_fmac_f32_e32 v4, 0xbf737871, v62
	v_add_f32_e32 v62, v109, v111
	v_fmac_f32_e32 v65, 0xbf167918, v60
	v_add_f32_e32 v64, v64, v66
	v_fmac_f32_e32 v4, 0x3f167918, v60
	v_fma_f32 v62, -0.5, v62, v5
	v_mul_f32_e32 v114, v153, v69
	v_fmac_f32_e32 v65, 0x3e9e377a, v64
	v_fmac_f32_e32 v4, 0x3e9e377a, v64
	v_sub_f32_e32 v67, v106, v112
	v_mov_b32_e32 v64, v62
	v_fmac_f32_e32 v114, v152, v68
	v_fmac_f32_e32 v64, 0x3f737871, v67
	v_sub_f32_e32 v68, v108, v110
	v_sub_f32_e32 v66, v107, v109
	v_sub_f32_e32 v69, v113, v111
	v_fmac_f32_e32 v62, 0xbf737871, v67
	v_fmac_f32_e32 v64, 0x3f167918, v68
	v_add_f32_e32 v66, v66, v69
	v_fmac_f32_e32 v62, 0xbf167918, v68
	v_fmac_f32_e32 v64, 0x3e9e377a, v66
	;; [unrolled: 1-line block ×3, first 2 shown]
	v_add_f32_e32 v66, v107, v113
	v_add_f32_e32 v60, v5, v107
	v_fma_f32 v5, -0.5, v66, v5
	v_mul_f32_e32 v31, v161, v71
	v_mov_b32_e32 v66, v5
	v_fmac_f32_e32 v31, v160, v70
	v_fmac_f32_e32 v66, 0xbf737871, v68
	v_sub_f32_e32 v69, v109, v107
	v_sub_f32_e32 v70, v111, v113
	v_fmac_f32_e32 v5, 0x3f737871, v68
	v_fmac_f32_e32 v66, 0x3f167918, v67
	v_add_f32_e32 v69, v69, v70
	v_fmac_f32_e32 v5, 0xbf167918, v67
	v_add_f32_e32 v68, v116, v118
	v_fmac_f32_e32 v66, 0x3e9e377a, v69
	v_fmac_f32_e32 v5, 0x3e9e377a, v69
	v_fma_f32 v69, -0.5, v68, v6
	v_mul_f32_e32 v33, v157, v75
	v_sub_f32_e32 v68, v115, v120
	v_mov_b32_e32 v71, v69
	v_fmac_f32_e32 v33, v156, v74
	v_fmac_f32_e32 v71, 0xbf737871, v68
	v_sub_f32_e32 v70, v117, v119
	v_sub_f32_e32 v73, v114, v116
	v_sub_f32_e32 v74, v72, v118
	v_fmac_f32_e32 v69, 0x3f737871, v68
	v_fmac_f32_e32 v71, 0xbf167918, v70
	v_add_f32_e32 v73, v73, v74
	v_fmac_f32_e32 v69, 0x3f167918, v70
	v_fmac_f32_e32 v71, 0x3e9e377a, v73
	;; [unrolled: 1-line block ×3, first 2 shown]
	v_add_f32_e32 v73, v114, v72
	v_add_f32_e32 v67, v6, v114
	v_fma_f32 v6, -0.5, v73, v6
	v_mov_b32_e32 v73, v6
	v_add_f32_e32 v67, v67, v116
	v_fmac_f32_e32 v73, 0x3f737871, v70
	v_fmac_f32_e32 v6, 0xbf737871, v70
	v_add_f32_e32 v70, v117, v119
	v_add_f32_e32 v67, v67, v118
	v_sub_f32_e32 v74, v116, v114
	v_sub_f32_e32 v75, v118, v72
	v_fma_f32 v70, -0.5, v70, v7
	v_add_f32_e32 v67, v67, v72
	v_fmac_f32_e32 v73, 0xbf167918, v68
	v_add_f32_e32 v74, v74, v75
	v_fmac_f32_e32 v6, 0x3f167918, v68
	v_sub_f32_e32 v75, v114, v72
	v_mov_b32_e32 v72, v70
	v_fmac_f32_e32 v73, 0x3e9e377a, v74
	v_fmac_f32_e32 v6, 0x3e9e377a, v74
	;; [unrolled: 1-line block ×3, first 2 shown]
	v_sub_f32_e32 v76, v116, v118
	v_sub_f32_e32 v74, v115, v117
	v_sub_f32_e32 v77, v120, v119
	v_fmac_f32_e32 v70, 0xbf737871, v75
	v_fmac_f32_e32 v72, 0x3f167918, v76
	v_add_f32_e32 v74, v74, v77
	v_fmac_f32_e32 v70, 0xbf167918, v76
	v_fmac_f32_e32 v72, 0x3e9e377a, v74
	;; [unrolled: 1-line block ×3, first 2 shown]
	v_add_f32_e32 v74, v115, v120
	v_add_f32_e32 v68, v7, v115
	v_fmac_f32_e32 v7, -0.5, v74
	v_mov_b32_e32 v74, v7
	v_fmac_f32_e32 v74, 0xbf737871, v76
	v_sub_f32_e32 v77, v117, v115
	v_sub_f32_e32 v78, v119, v120
	v_fmac_f32_e32 v7, 0x3f737871, v76
	v_fmac_f32_e32 v74, 0x3f167918, v75
	v_add_f32_e32 v77, v77, v78
	v_fmac_f32_e32 v7, 0xbf167918, v75
	v_add_f32_e32 v76, v32, v33
	v_fmac_f32_e32 v74, 0x3e9e377a, v77
	v_fmac_f32_e32 v7, 0x3e9e377a, v77
	v_fma_f32 v77, -0.5, v76, v0
	v_sub_f32_e32 v76, v27, v30
	v_mov_b32_e32 v79, v77
	v_fmac_f32_e32 v79, 0xbf737871, v76
	v_sub_f32_e32 v78, v28, v29
	v_sub_f32_e32 v80, v31, v32
	v_sub_f32_e32 v81, v34, v33
	v_fmac_f32_e32 v77, 0x3f737871, v76
	v_fmac_f32_e32 v79, 0xbf167918, v78
	v_add_f32_e32 v80, v80, v81
	v_fmac_f32_e32 v77, 0x3f167918, v78
	v_fmac_f32_e32 v79, 0x3e9e377a, v80
	;; [unrolled: 1-line block ×3, first 2 shown]
	v_add_f32_e32 v80, v31, v34
	v_add_f32_e32 v75, v0, v31
	v_fma_f32 v0, -0.5, v80, v0
	v_mov_b32_e32 v81, v0
	v_add_f32_e32 v36, v36, v87
	v_fmac_f32_e32 v81, 0x3f737871, v78
	v_sub_f32_e32 v80, v32, v31
	v_sub_f32_e32 v82, v33, v34
	v_fmac_f32_e32 v0, 0xbf737871, v78
	v_add_f32_e32 v78, v28, v29
	v_add_f32_e32 v36, v36, v89
	;; [unrolled: 1-line block ×3, first 2 shown]
	v_fmac_f32_e32 v81, 0xbf167918, v76
	v_add_f32_e32 v80, v80, v82
	v_fmac_f32_e32 v0, 0x3f167918, v76
	v_fma_f32 v78, -0.5, v78, v1
	v_add_f32_e32 v36, v36, v90
	v_add_f32_e32 v43, v43, v93
	;; [unrolled: 1-line block ×5, first 2 shown]
	v_fmac_f32_e32 v81, 0x3e9e377a, v80
	v_fmac_f32_e32 v0, 0x3e9e377a, v80
	v_sub_f32_e32 v31, v31, v34
	v_mov_b32_e32 v80, v78
	ds_write_b64 v255, v[18:19]
	ds_write_b64 v254, v[20:21] offset:952
	ds_write_b64 v254, v[22:23] offset:1904
	;; [unrolled: 1-line block ×9, first 2 shown]
	v_add_u32_e32 v2, 0x110, v255
	v_add_f32_e32 v43, v43, v95
	v_add_f32_e32 v44, v44, v96
	;; [unrolled: 1-line block ×4, first 2 shown]
	v_fmac_f32_e32 v80, 0x3f737871, v31
	v_sub_f32_e32 v32, v32, v33
	v_sub_f32_e32 v33, v27, v28
	;; [unrolled: 1-line block ×3, first 2 shown]
	v_fmac_f32_e32 v78, 0xbf737871, v31
	ds_write2_b64 v2, v[47:48], v[49:50] offset0:119 offset1:238
	v_add_u32_e32 v2, 0x800, v2
	v_add_f32_e32 v43, v43, v97
	v_add_f32_e32 v44, v44, v98
	;; [unrolled: 1-line block ×3, first 2 shown]
	v_fmac_f32_e32 v80, 0x3f167918, v32
	v_add_f32_e32 v33, v33, v34
	v_fmac_f32_e32 v78, 0xbf167918, v32
	ds_write2_b64 v2, v[8:9], v[45:46] offset0:101 offset1:220
	ds_write2_b64 v255, v[43:44], v[51:52] offset0:34 offset1:51
	v_add_u32_e32 v2, 0x198, v255
	v_fmac_f32_e32 v80, 0x3e9e377a, v33
	v_fmac_f32_e32 v78, 0x3e9e377a, v33
	v_add_f32_e32 v33, v27, v30
	ds_write2_b64 v2, v[55:56], v[57:58] offset0:119 offset1:238
	v_add_u32_e32 v2, 0x800, v2
	v_add_f32_e32 v59, v59, v108
	v_add_f32_e32 v60, v60, v109
	;; [unrolled: 1-line block ×4, first 2 shown]
	v_fmac_f32_e32 v1, -0.5, v33
	ds_write2_b64 v2, v[10:11], v[53:54] offset0:101 offset1:220
	v_add_u32_e32 v2, 0x220, v255
	v_add_f32_e32 v59, v59, v110
	v_add_f32_e32 v60, v60, v111
	;; [unrolled: 1-line block ×3, first 2 shown]
	v_mov_b32_e32 v82, v1
	ds_write2_b64 v2, v[63:64], v[65:66] offset0:119 offset1:238
	v_add_u32_e32 v2, 0x800, v2
	v_add_f32_e32 v59, v59, v112
	v_add_f32_e32 v60, v60, v113
	;; [unrolled: 1-line block ×4, first 2 shown]
	v_fmac_f32_e32 v82, 0xbf737871, v32
	v_sub_f32_e32 v27, v28, v27
	v_sub_f32_e32 v28, v29, v30
	ds_write2_b64 v2, v[4:5], v[61:62] offset0:101 offset1:220
	ds_write2_b64 v255, v[59:60], v[67:68] offset0:68 offset1:85
	v_add_u32_e32 v2, 0x2a8, v255
	v_add_f32_e32 v76, v76, v29
	v_fmac_f32_e32 v82, 0x3f167918, v31
	v_add_f32_e32 v27, v27, v28
	v_fmac_f32_e32 v1, 0x3f737871, v32
	ds_write2_b64 v2, v[71:72], v[73:74] offset0:119 offset1:238
	v_add_u32_e32 v2, 0x800, v2
	v_add_f32_e32 v76, v76, v30
	v_fmac_f32_e32 v82, 0x3e9e377a, v27
	v_fmac_f32_e32 v1, 0xbf167918, v31
	ds_write2_b64 v2, v[6:7], v[69:70] offset0:101 offset1:220
	ds_write_b64 v255, v[75:76] offset:816
	v_add_u32_e32 v2, 0x330, v255
	v_fmac_f32_e32 v1, 0x3e9e377a, v27
	ds_write2_b64 v2, v[79:80], v[81:82] offset0:119 offset1:238
	v_add_u32_e32 v2, 0x800, v2
	ds_write2_b64 v2, v[0:1], v[77:78] offset0:101 offset1:220
	s_waitcnt lgkmcnt(0)
	; wave barrier
	s_waitcnt lgkmcnt(0)
	ds_read2_b64 v[8:11], v255 offset1:17
	buffer_load_dword v4, off, s[20:23], 0 offset:196 ; 4-byte Folded Reload
	buffer_load_dword v5, off, s[20:23], 0 offset:200 ; 4-byte Folded Reload
	s_waitcnt vmcnt(3)
	v_mad_u64_u32 v[16:17], s[0:1], s10, v121, 0
	s_mul_hi_u32 s5, s8, 0xfffff098
	s_mul_i32 s4, s9, 0xfffff098
	v_mov_b32_e32 v0, v17
	v_mad_u64_u32 v[0:1], s[0:1], s11, v121, v[0:1]
	s_mov_b32 s0, 0x1b89401c
	s_mov_b32 s1, 0x3f5b8940
	v_mov_b32_e32 v17, v0
	s_sub_i32 s5, s5, s8
	s_add_i32 s5, s5, s4
	s_mul_i32 s4, s8, 0xfffff098
	s_waitcnt vmcnt(0) lgkmcnt(0)
	v_mul_f32_e32 v3, v5, v8
	v_mul_f32_e32 v1, v5, v9
	v_fma_f32 v3, v4, v9, -v3
	buffer_load_dword v9, off, s[20:23], 0 offset:152 ; 4-byte Folded Reload
	v_fmac_f32_e32 v1, v4, v8
	v_cvt_f64_f32_e32 v[1:2], v1
	v_cvt_f64_f32_e32 v[3:4], v3
	v_mul_f64 v[1:2], v[1:2], s[0:1]
	v_mul_f64 v[7:8], v[3:4], s[0:1]
	v_mov_b32_e32 v4, s7
	v_cvt_f32_f64_e32 v14, v[7:8]
	s_waitcnt vmcnt(0)
	v_mad_u64_u32 v[5:6], s[2:3], s8, v9, 0
	v_mov_b32_e32 v0, v6
	v_mad_u64_u32 v[12:13], s[2:3], s9, v9, v[0:1]
	v_cvt_f32_f64_e32 v13, v[1:2]
	ds_read2_b64 v[0:3], v255 offset0:68 offset1:85
	v_lshlrev_b64 v[8:9], 3, v[16:17]
	buffer_load_dword v17, off, s[20:23], 0 offset:188 ; 4-byte Folded Reload
	buffer_load_dword v18, off, s[20:23], 0 offset:192 ; 4-byte Folded Reload
	v_mov_b32_e32 v6, v12
	v_add_co_u32_e32 v8, vcc, s6, v8
	v_addc_co_u32_e32 v9, vcc, v4, v9, vcc
	v_lshlrev_b64 v[4:5], 3, v[5:6]
	s_mul_i32 s2, s9, 0x2a8
	s_mul_hi_u32 s3, s8, 0x2a8
	s_add_i32 s2, s3, s2
	s_mul_i32 s3, s8, 0x2a8
	v_mov_b32_e32 v21, s2
	v_mov_b32_e32 v22, s2
	;; [unrolled: 1-line block ×3, first 2 shown]
	s_waitcnt vmcnt(0) lgkmcnt(0)
	v_mul_f32_e32 v7, v18, v3
	v_fmac_f32_e32 v7, v17, v2
	v_cvt_f64_f32_e32 v[15:16], v7
	v_mul_f32_e32 v2, v18, v2
	v_fma_f32 v2, v17, v3, -v2
	v_cvt_f64_f32_e32 v[2:3], v2
	v_mul_f64 v[6:7], v[15:16], s[0:1]
	v_add_co_u32_e32 v16, vcc, v8, v4
	v_addc_co_u32_e32 v17, vcc, v9, v5, vcc
	global_store_dwordx2 v[16:17], v[13:14], off
	ds_read2_b64 v[12:15], v255 offset0:170 offset1:187
	buffer_load_dword v4, off, s[20:23], 0 offset:172 ; 4-byte Folded Reload
	buffer_load_dword v5, off, s[20:23], 0 offset:176 ; 4-byte Folded Reload
	v_mul_f64 v[2:3], v[2:3], s[0:1]
	v_cvt_f32_f64_e32 v6, v[6:7]
	v_add_co_u32_e32 v20, vcc, s3, v16
	v_addc_co_u32_e32 v21, vcc, v17, v21, vcc
	v_cvt_f32_f64_e32 v7, v[2:3]
	global_store_dwordx2 v[20:21], v[6:7], off
	v_add_co_u32_e32 v20, vcc, s3, v20
	v_addc_co_u32_e32 v21, vcc, v21, v22, vcc
	s_waitcnt vmcnt(1) lgkmcnt(0)
	v_mul_f32_e32 v2, v5, v13
	v_fmac_f32_e32 v2, v4, v12
	v_cvt_f64_f32_e32 v[2:3], v2
	v_mul_f64 v[18:19], v[2:3], s[0:1]
	v_mul_f32_e32 v2, v5, v12
	v_fma_f32 v2, v4, v13, -v2
	v_cvt_f64_f32_e32 v[12:13], v2
	ds_read2_b64 v[2:5], v255 offset0:238 offset1:255
	v_mul_f64 v[6:7], v[12:13], s[0:1]
	v_cvt_f32_f64_e32 v12, v[18:19]
	buffer_load_dword v18, off, s[20:23], 0 offset:156 ; 4-byte Folded Reload
	buffer_load_dword v19, off, s[20:23], 0 offset:160 ; 4-byte Folded Reload
	s_waitcnt vmcnt(0) lgkmcnt(0)
	v_mul_f32_e32 v13, v19, v5
	v_fmac_f32_e32 v13, v18, v4
	v_cvt_f64_f32_e32 v[16:17], v13
	v_cvt_f32_f64_e32 v13, v[6:7]
	v_mul_f32_e32 v4, v19, v4
	v_fma_f32 v4, v18, v5, -v4
	v_mul_f64 v[6:7], v[16:17], s[0:1]
	global_store_dwordx2 v[20:21], v[12:13], off
	ds_read2_b64 v[16:19], v24 offset0:84 offset1:101
	buffer_load_dword v28, off, s[20:23], 0 offset:144 ; 4-byte Folded Reload
	buffer_load_dword v29, off, s[20:23], 0 offset:148 ; 4-byte Folded Reload
	v_cvt_f64_f32_e32 v[4:5], v4
	v_add_co_u32_e32 v20, vcc, s3, v20
	v_addc_co_u32_e32 v21, vcc, v21, v27, vcc
	v_mul_f64 v[4:5], v[4:5], s[0:1]
	v_cvt_f32_f64_e32 v22, v[6:7]
	v_cvt_f32_f64_e32 v23, v[4:5]
	global_store_dwordx2 v[20:21], v[22:23], off
	s_waitcnt vmcnt(1) lgkmcnt(0)
	v_mul_f32_e32 v4, v29, v16
	v_mul_f32_e32 v12, v29, v17
	v_fma_f32 v4, v28, v17, -v4
	v_fmac_f32_e32 v12, v28, v16
	v_cvt_f64_f32_e32 v[16:17], v4
	ds_read2_b64 v[4:7], v24 offset0:152 offset1:169
	buffer_load_dword v27, off, s[20:23], 0 offset:288 ; 4-byte Folded Reload
	buffer_load_dword v28, off, s[20:23], 0 offset:292 ; 4-byte Folded Reload
	v_cvt_f64_f32_e32 v[12:13], v12
	v_mul_f64 v[16:17], v[16:17], s[0:1]
	v_mul_f64 v[12:13], v[12:13], s[0:1]
	v_cvt_f32_f64_e32 v12, v[12:13]
	s_waitcnt vmcnt(0) lgkmcnt(0)
	v_mul_f32_e32 v13, v28, v7
	v_fmac_f32_e32 v13, v27, v6
	v_cvt_f64_f32_e32 v[22:23], v13
	v_cvt_f32_f64_e32 v13, v[16:17]
	v_mul_f32_e32 v6, v28, v6
	v_fma_f32 v6, v27, v7, -v6
	v_mov_b32_e32 v28, s2
	v_add_co_u32_e32 v27, vcc, s3, v20
	v_addc_co_u32_e32 v28, vcc, v21, v28, vcc
	global_store_dwordx2 v[27:28], v[12:13], off
	v_mul_f64 v[16:17], v[22:23], s[0:1]
	ds_read2_b64 v[20:23], v26 offset0:126 offset1:143
	buffer_load_dword v29, off, s[20:23], 0 offset:280 ; 4-byte Folded Reload
	buffer_load_dword v30, off, s[20:23], 0 offset:284 ; 4-byte Folded Reload
	v_cvt_f64_f32_e32 v[6:7], v6
	v_mov_b32_e32 v26, s2
	v_mul_f64 v[6:7], v[6:7], s[0:1]
	v_cvt_f32_f64_e32 v12, v[16:17]
	v_cvt_f32_f64_e32 v13, v[6:7]
	s_waitcnt vmcnt(0) lgkmcnt(0)
	v_mul_f32_e32 v6, v30, v21
	v_fmac_f32_e32 v6, v29, v20
	v_mul_f32_e32 v16, v30, v20
	v_add_co_u32_e32 v20, vcc, s3, v27
	v_fma_f32 v16, v29, v21, -v16
	v_addc_co_u32_e32 v21, vcc, v28, v26, vcc
	global_store_dwordx2 v[20:21], v[12:13], off
	buffer_load_dword v26, off, s[20:23], 0 offset:204 ; 4-byte Folded Reload
	buffer_load_dword v27, off, s[20:23], 0 offset:208 ; 4-byte Folded Reload
	v_cvt_f64_f32_e32 v[6:7], v6
	v_cvt_f64_f32_e32 v[16:17], v16
	v_mov_b32_e32 v28, s2
	v_mov_b32_e32 v30, s2
	v_mul_f64 v[6:7], v[6:7], s[0:1]
	v_mul_f64 v[12:13], v[16:17], s[0:1]
	v_cvt_f32_f64_e32 v6, v[6:7]
	v_cvt_f32_f64_e32 v7, v[12:13]
	s_waitcnt vmcnt(0)
	v_mul_f32_e32 v16, v27, v11
	v_fmac_f32_e32 v16, v26, v10
	v_mul_f32_e32 v10, v27, v10
	v_fma_f32 v10, v26, v11, -v10
	v_cvt_f64_f32_e32 v[16:17], v16
	v_cvt_f64_f32_e32 v[10:11], v10
	v_mul_f64 v[12:13], v[16:17], s[0:1]
	v_mul_f64 v[10:11], v[10:11], s[0:1]
	v_mov_b32_e32 v17, s2
	v_add_co_u32_e32 v16, vcc, s3, v20
	v_addc_co_u32_e32 v17, vcc, v21, v17, vcc
	global_store_dwordx2 v[16:17], v[6:7], off
	v_cvt_f32_f64_e32 v6, v[12:13]
	v_cvt_f32_f64_e32 v7, v[10:11]
	ds_read2_b64 v[10:13], v255 offset0:102 offset1:119
	buffer_load_dword v26, off, s[20:23], 0 offset:136 ; 4-byte Folded Reload
	buffer_load_dword v27, off, s[20:23], 0 offset:140 ; 4-byte Folded Reload
	s_waitcnt vmcnt(0) lgkmcnt(0)
	v_mul_f32_e32 v20, v27, v11
	v_fmac_f32_e32 v20, v26, v10
	v_mul_f32_e32 v10, v27, v10
	v_fma_f32 v10, v26, v11, -v10
	v_mov_b32_e32 v27, s5
	v_add_co_u32_e32 v26, vcc, s4, v16
	v_addc_co_u32_e32 v27, vcc, v17, v27, vcc
	global_store_dwordx2 v[26:27], v[6:7], off
	buffer_load_dword v16, off, s[20:23], 0 offset:104 ; 4-byte Folded Reload
	buffer_load_dword v17, off, s[20:23], 0 offset:108 ; 4-byte Folded Reload
	v_cvt_f64_f32_e32 v[20:21], v20
	v_cvt_f64_f32_e32 v[10:11], v10
	v_add_co_u32_e32 v26, vcc, s3, v26
	v_mul_f64 v[20:21], v[20:21], s[0:1]
	v_mul_f64 v[10:11], v[10:11], s[0:1]
	v_addc_co_u32_e32 v27, vcc, v27, v28, vcc
	v_cvt_f32_f64_e32 v20, v[20:21]
	v_cvt_f32_f64_e32 v21, v[10:11]
	global_store_dwordx2 v[26:27], v[20:21], off
	v_add_co_u32_e32 v26, vcc, s3, v26
	s_waitcnt vmcnt(1)
	v_mul_f32_e32 v6, v17, v15
	v_mul_f32_e32 v10, v17, v14
	v_fmac_f32_e32 v6, v16, v14
	v_fma_f32 v10, v16, v15, -v10
	ds_read2_b64 v[14:17], v24 offset0:16 offset1:33
	buffer_load_dword v28, off, s[20:23], 0 offset:272 ; 4-byte Folded Reload
	buffer_load_dword v29, off, s[20:23], 0 offset:276 ; 4-byte Folded Reload
	v_cvt_f64_f32_e32 v[6:7], v6
	v_cvt_f64_f32_e32 v[10:11], v10
	v_mul_f64 v[6:7], v[6:7], s[0:1]
	v_mul_f64 v[10:11], v[10:11], s[0:1]
	v_cvt_f32_f64_e32 v6, v[6:7]
	s_waitcnt vmcnt(0) lgkmcnt(0)
	v_mul_f32_e32 v7, v29, v15
	v_fmac_f32_e32 v7, v28, v14
	v_cvt_f64_f32_e32 v[20:21], v7
	v_mul_f32_e32 v7, v29, v14
	v_fma_f32 v7, v28, v15, -v7
	v_cvt_f64_f32_e32 v[14:15], v7
	v_cvt_f32_f64_e32 v7, v[10:11]
	v_mov_b32_e32 v28, s2
	v_addc_co_u32_e32 v27, vcc, v27, v28, vcc
	global_store_dwordx2 v[26:27], v[6:7], off
	v_mul_f64 v[10:11], v[20:21], s[0:1]
	buffer_load_dword v20, off, s[20:23], 0 offset:264 ; 4-byte Folded Reload
	buffer_load_dword v21, off, s[20:23], 0 offset:268 ; 4-byte Folded Reload
	v_mul_f64 v[14:15], v[14:15], s[0:1]
	v_add_co_u32_e32 v26, vcc, s3, v26
	v_addc_co_u32_e32 v27, vcc, v27, v28, vcc
	v_cvt_f32_f64_e32 v10, v[10:11]
	v_cvt_f32_f64_e32 v11, v[14:15]
	global_store_dwordx2 v[26:27], v[10:11], off
	s_waitcnt vmcnt(1)
	v_mul_f32_e32 v6, v21, v19
	v_mul_f32_e32 v14, v21, v18
	v_fmac_f32_e32 v6, v20, v18
	v_fma_f32 v14, v20, v19, -v14
	ds_read2_b64 v[18:21], v24 offset0:186 offset1:203
	buffer_load_dword v28, off, s[20:23], 0 offset:256 ; 4-byte Folded Reload
	buffer_load_dword v29, off, s[20:23], 0 offset:260 ; 4-byte Folded Reload
	v_cvt_f64_f32_e32 v[6:7], v6
	v_cvt_f64_f32_e32 v[14:15], v14
	v_mul_f64 v[6:7], v[6:7], s[0:1]
	v_mul_f64 v[10:11], v[14:15], s[0:1]
	v_cvt_f32_f64_e32 v6, v[6:7]
	s_waitcnt vmcnt(0) lgkmcnt(0)
	v_mul_f32_e32 v7, v29, v19
	v_fmac_f32_e32 v7, v28, v18
	v_cvt_f64_f32_e32 v[14:15], v7
	v_mul_f32_e32 v7, v29, v18
	v_fma_f32 v7, v28, v19, -v7
	v_cvt_f64_f32_e32 v[18:19], v7
	v_cvt_f32_f64_e32 v7, v[10:11]
	v_mov_b32_e32 v28, s2
	v_mul_f64 v[10:11], v[14:15], s[0:1]
	v_mul_f64 v[14:15], v[18:19], s[0:1]
	v_add_co_u32_e32 v18, vcc, s3, v26
	v_addc_co_u32_e32 v19, vcc, v27, v28, vcc
	global_store_dwordx2 v[18:19], v[6:7], off
	buffer_load_dword v26, off, s[20:23], 0 offset:248 ; 4-byte Folded Reload
	buffer_load_dword v27, off, s[20:23], 0 offset:252 ; 4-byte Folded Reload
	v_cvt_f32_f64_e32 v10, v[10:11]
	v_cvt_f32_f64_e32 v11, v[14:15]
	v_add_co_u32_e32 v18, vcc, s3, v18
	v_addc_co_u32_e32 v19, vcc, v19, v30, vcc
	global_store_dwordx2 v[18:19], v[10:11], off
	v_add_co_u32_e32 v18, vcc, s3, v18
	s_waitcnt vmcnt(1)
	v_mul_f32_e32 v6, v27, v23
	v_mul_f32_e32 v14, v27, v22
	v_fmac_f32_e32 v6, v26, v22
	v_fma_f32 v14, v26, v23, -v14
	ds_read2_b64 v[26:29], v255 offset0:34 offset1:51
	buffer_load_dword v22, off, s[20:23], 0 offset:88 ; 4-byte Folded Reload
	buffer_load_dword v23, off, s[20:23], 0 offset:92 ; 4-byte Folded Reload
	v_cvt_f64_f32_e32 v[6:7], v6
	v_cvt_f64_f32_e32 v[14:15], v14
	v_mul_f64 v[6:7], v[6:7], s[0:1]
	v_mul_f64 v[10:11], v[14:15], s[0:1]
	v_cvt_f32_f64_e32 v6, v[6:7]
	s_waitcnt vmcnt(0) lgkmcnt(0)
	v_mul_f32_e32 v7, v23, v27
	v_fmac_f32_e32 v7, v22, v26
	v_cvt_f64_f32_e32 v[14:15], v7
	v_mul_f32_e32 v7, v23, v26
	v_fma_f32 v7, v22, v27, -v7
	v_cvt_f64_f32_e32 v[22:23], v7
	v_cvt_f32_f64_e32 v7, v[10:11]
	v_mov_b32_e32 v26, s2
	v_addc_co_u32_e32 v19, vcc, v19, v26, vcc
	global_store_dwordx2 v[18:19], v[6:7], off
	buffer_load_dword v30, off, s[20:23], 0 offset:80 ; 4-byte Folded Reload
	buffer_load_dword v31, off, s[20:23], 0 offset:84 ; 4-byte Folded Reload
	v_mul_f64 v[10:11], v[14:15], s[0:1]
	v_mul_f64 v[14:15], v[22:23], s[0:1]
	v_mov_b32_e32 v26, s5
	v_add_co_u32_e32 v18, vcc, s4, v18
	v_addc_co_u32_e32 v19, vcc, v19, v26, vcc
	v_cvt_f32_f64_e32 v22, v[10:11]
	v_cvt_f32_f64_e32 v23, v[14:15]
	global_store_dwordx2 v[18:19], v[22:23], off
	v_add_co_u32_e32 v18, vcc, s3, v18
	s_waitcnt vmcnt(1)
	v_mul_f32_e32 v10, v31, v12
	v_mul_f32_e32 v6, v31, v13
	v_fma_f32 v10, v30, v13, -v10
	v_fmac_f32_e32 v6, v30, v12
	v_cvt_f64_f32_e32 v[14:15], v10
	ds_read2_b64 v[10:13], v255 offset0:204 offset1:221
	buffer_load_dword v26, off, s[20:23], 0 offset:120 ; 4-byte Folded Reload
	buffer_load_dword v27, off, s[20:23], 0 offset:124 ; 4-byte Folded Reload
	v_cvt_f64_f32_e32 v[6:7], v6
	v_mul_f64 v[14:15], v[14:15], s[0:1]
	v_mul_f64 v[6:7], v[6:7], s[0:1]
	v_cvt_f32_f64_e32 v6, v[6:7]
	s_waitcnt vmcnt(0) lgkmcnt(0)
	v_mul_f32_e32 v7, v27, v11
	v_fmac_f32_e32 v7, v26, v10
	v_cvt_f64_f32_e32 v[22:23], v7
	v_mul_f32_e32 v7, v27, v10
	v_fma_f32 v7, v26, v11, -v7
	v_cvt_f64_f32_e32 v[10:11], v7
	v_cvt_f32_f64_e32 v7, v[14:15]
	v_mov_b32_e32 v26, s2
	v_addc_co_u32_e32 v19, vcc, v19, v26, vcc
	global_store_dwordx2 v[18:19], v[6:7], off
	buffer_load_dword v30, off, s[20:23], 0 offset:228 ; 4-byte Folded Reload
	buffer_load_dword v31, off, s[20:23], 0 offset:232 ; 4-byte Folded Reload
	v_mul_f64 v[14:15], v[22:23], s[0:1]
	v_mul_f64 v[10:11], v[10:11], s[0:1]
	v_add_co_u32_e32 v18, vcc, s3, v18
	v_addc_co_u32_e32 v19, vcc, v19, v26, vcc
	v_cvt_f32_f64_e32 v22, v[14:15]
	v_cvt_f32_f64_e32 v23, v[10:11]
	global_store_dwordx2 v[18:19], v[22:23], off
	s_waitcnt vmcnt(1)
	v_mul_f32_e32 v6, v31, v17
	v_mul_f32_e32 v10, v31, v16
	v_fmac_f32_e32 v6, v30, v16
	v_fma_f32 v10, v30, v17, -v10
	ds_read2_b64 v[14:17], v24 offset0:118 offset1:135
	buffer_load_dword v26, off, s[20:23], 0 offset:220 ; 4-byte Folded Reload
	buffer_load_dword v27, off, s[20:23], 0 offset:224 ; 4-byte Folded Reload
	v_cvt_f64_f32_e32 v[6:7], v6
	v_cvt_f64_f32_e32 v[10:11], v10
	v_mul_f64 v[6:7], v[6:7], s[0:1]
	v_mul_f64 v[10:11], v[10:11], s[0:1]
	v_cvt_f32_f64_e32 v6, v[6:7]
	s_waitcnt vmcnt(0) lgkmcnt(0)
	v_mul_f32_e32 v7, v27, v15
	v_fmac_f32_e32 v7, v26, v14
	v_cvt_f64_f32_e32 v[22:23], v7
	v_mul_f32_e32 v7, v27, v14
	v_fma_f32 v7, v26, v15, -v7
	v_cvt_f64_f32_e32 v[14:15], v7
	v_cvt_f32_f64_e32 v7, v[10:11]
	v_mov_b32_e32 v26, s2
	v_mul_f64 v[10:11], v[22:23], s[0:1]
	v_add_co_u32_e32 v22, vcc, s3, v18
	v_addc_co_u32_e32 v23, vcc, v19, v26, vcc
	global_store_dwordx2 v[22:23], v[6:7], off
	buffer_load_dword v18, off, s[20:23], 0 offset:212 ; 4-byte Folded Reload
	buffer_load_dword v19, off, s[20:23], 0 offset:216 ; 4-byte Folded Reload
	v_mul_f64 v[14:15], v[14:15], s[0:1]
	v_cvt_f32_f64_e32 v10, v[10:11]
	v_add_co_u32_e32 v22, vcc, s3, v22
	v_addc_co_u32_e32 v23, vcc, v23, v26, vcc
	v_cvt_f32_f64_e32 v11, v[14:15]
	global_store_dwordx2 v[22:23], v[10:11], off
	v_add_co_u32_e32 v22, vcc, s3, v22
	s_waitcnt vmcnt(1)
	v_mul_f32_e32 v6, v19, v21
	v_mul_f32_e32 v14, v19, v20
	v_fmac_f32_e32 v6, v18, v20
	v_fma_f32 v14, v18, v21, -v14
	ds_read2_b64 v[18:21], v25 offset0:32 offset1:49
	buffer_load_dword v25, off, s[20:23], 0 offset:240 ; 4-byte Folded Reload
	buffer_load_dword v26, off, s[20:23], 0 offset:244 ; 4-byte Folded Reload
	v_cvt_f64_f32_e32 v[6:7], v6
	v_cvt_f64_f32_e32 v[14:15], v14
	v_mul_f64 v[6:7], v[6:7], s[0:1]
	v_mul_f64 v[10:11], v[14:15], s[0:1]
	v_cvt_f32_f64_e32 v6, v[6:7]
	s_waitcnt vmcnt(0) lgkmcnt(0)
	v_mul_f32_e32 v7, v26, v19
	v_fmac_f32_e32 v7, v25, v18
	v_cvt_f64_f32_e32 v[14:15], v7
	v_mul_f32_e32 v7, v26, v18
	buffer_load_dword v26, off, s[20:23], 0 offset:236 ; 4-byte Folded Reload
	v_fma_f32 v7, v25, v19, -v7
	v_cvt_f64_f32_e32 v[18:19], v7
	v_cvt_f32_f64_e32 v7, v[10:11]
	v_mul_f64 v[10:11], v[14:15], s[0:1]
	v_mov_b32_e32 v25, s2
	v_mul_f64 v[14:15], v[18:19], s[0:1]
	v_addc_co_u32_e32 v23, vcc, v23, v25, vcc
	global_store_dwordx2 v[22:23], v[6:7], off
	v_cvt_f32_f64_e32 v6, v[10:11]
	v_cvt_f32_f64_e32 v7, v[14:15]
	s_waitcnt vmcnt(1)
	v_mad_u64_u32 v[18:19], s[6:7], s8, v26, 0
	v_mad_u64_u32 v[25:26], s[6:7], s9, v26, v[19:20]
	v_mov_b32_e32 v19, v25
	buffer_load_dword v25, off, s[20:23], 0 offset:56 ; 4-byte Folded Reload
	buffer_load_dword v26, off, s[20:23], 0 offset:60 ; 4-byte Folded Reload
	v_lshlrev_b64 v[10:11], 3, v[18:19]
	v_add_co_u32_e32 v8, vcc, v8, v10
	v_addc_co_u32_e32 v9, vcc, v9, v11, vcc
	global_store_dwordx2 v[8:9], v[6:7], off
	s_waitcnt vmcnt(1)
	v_mul_f32_e32 v18, v26, v28
	v_fma_f32 v18, v25, v29, -v18
	v_cvt_f64_f32_e32 v[18:19], v18
	v_mul_f32_e32 v14, v26, v29
	v_fmac_f32_e32 v14, v25, v28
	ds_read2_b64 v[25:28], v255 offset0:136 offset1:153
	v_mul_f64 v[8:9], v[18:19], s[0:1]
	buffer_load_dword v18, off, s[20:23], 0 offset:48 ; 4-byte Folded Reload
	buffer_load_dword v19, off, s[20:23], 0 offset:52 ; 4-byte Folded Reload
	v_cvt_f64_f32_e32 v[14:15], v14
	v_mul_f64 v[6:7], v[14:15], s[0:1]
	v_cvt_f32_f64_e32 v6, v[6:7]
	v_mov_b32_e32 v7, 0xfffff340
	s_waitcnt vmcnt(0) lgkmcnt(0)
	v_mul_f32_e32 v10, v19, v26
	v_mul_f32_e32 v14, v19, v25
	v_fmac_f32_e32 v10, v18, v25
	v_fma_f32 v14, v18, v26, -v14
	v_mad_u64_u32 v[18:19], s[6:7], s8, v7, v[22:23]
	v_cvt_f32_f64_e32 v7, v[8:9]
	s_mul_i32 s6, s9, 0xfffff340
	s_sub_i32 s6, s6, s8
	v_add_u32_e32 v19, s6, v19
	global_store_dwordx2 v[18:19], v[6:7], off
	buffer_load_dword v7, off, s[20:23], 0 offset:24 ; 4-byte Folded Reload
	s_nop 0
	buffer_load_dword v8, off, s[20:23], 0 offset:28 ; 4-byte Folded Reload
	v_cvt_f64_f32_e32 v[10:11], v10
	v_cvt_f64_f32_e32 v[14:15], v14
	v_mov_b32_e32 v22, s2
	v_add_co_u32_e32 v18, vcc, s3, v18
	v_mul_f64 v[10:11], v[10:11], s[0:1]
	v_mul_f64 v[14:15], v[14:15], s[0:1]
	v_addc_co_u32_e32 v19, vcc, v19, v22, vcc
	v_cvt_f32_f64_e32 v10, v[10:11]
	v_cvt_f32_f64_e32 v11, v[14:15]
	global_store_dwordx2 v[18:19], v[10:11], off
	s_waitcnt vmcnt(1)
	v_mul_f32_e32 v6, v8, v13
	v_fmac_f32_e32 v6, v7, v12
	v_cvt_f64_f32_e32 v[14:15], v6
	v_mul_f32_e32 v6, v8, v12
	v_fma_f32 v6, v7, v13, -v6
	v_cvt_f64_f32_e32 v[12:13], v6
	ds_read2_b64 v[6:9], v24 offset0:50 offset1:67
	buffer_load_dword v22, off, s[20:23], 0 offset:180 ; 4-byte Folded Reload
	buffer_load_dword v23, off, s[20:23], 0 offset:184 ; 4-byte Folded Reload
	v_mul_f64 v[10:11], v[14:15], s[0:1]
	v_mul_f64 v[12:13], v[12:13], s[0:1]
	v_cvt_f32_f64_e32 v10, v[10:11]
	v_cvt_f32_f64_e32 v11, v[12:13]
	s_waitcnt vmcnt(0) lgkmcnt(0)
	v_mul_f32_e32 v14, v23, v7
	v_fmac_f32_e32 v14, v22, v6
	v_cvt_f64_f32_e32 v[14:15], v14
	v_mul_f32_e32 v6, v23, v6
	v_fma_f32 v6, v22, v7, -v6
	v_cvt_f64_f32_e32 v[6:7], v6
	v_mul_f64 v[12:13], v[14:15], s[0:1]
	v_mov_b32_e32 v15, s2
	v_add_co_u32_e32 v14, vcc, s3, v18
	v_addc_co_u32_e32 v15, vcc, v19, v15, vcc
	global_store_dwordx2 v[14:15], v[10:11], off
	v_mul_f64 v[6:7], v[6:7], s[0:1]
	v_cvt_f32_f64_e32 v18, v[12:13]
	buffer_load_dword v11, off, s[20:23], 0 offset:96 ; 4-byte Folded Reload
	buffer_load_dword v12, off, s[20:23], 0 offset:100 ; 4-byte Folded Reload
	v_mov_b32_e32 v22, s2
	v_add_co_u32_e32 v14, vcc, s3, v14
	v_addc_co_u32_e32 v15, vcc, v15, v22, vcc
	v_cvt_f32_f64_e32 v19, v[6:7]
	global_store_dwordx2 v[14:15], v[18:19], off
	v_add_co_u32_e32 v14, vcc, s3, v14
	s_waitcnt vmcnt(1)
	v_mul_f32_e32 v10, v12, v16
	v_mul_f32_e32 v6, v12, v17
	v_fma_f32 v10, v11, v17, -v10
	v_fmac_f32_e32 v6, v11, v16
	v_cvt_f64_f32_e32 v[16:17], v10
	ds_read2_b64 v[10:13], v24 offset0:220 offset1:237
	buffer_load_dword v22, off, s[20:23], 0 offset:112 ; 4-byte Folded Reload
	buffer_load_dword v23, off, s[20:23], 0 offset:116 ; 4-byte Folded Reload
	v_cvt_f64_f32_e32 v[6:7], v6
	v_mul_f64 v[16:17], v[16:17], s[0:1]
	v_mul_f64 v[6:7], v[6:7], s[0:1]
	v_cvt_f32_f64_e32 v6, v[6:7]
	v_cvt_f32_f64_e32 v7, v[16:17]
	s_waitcnt vmcnt(0) lgkmcnt(0)
	v_mul_f32_e32 v18, v23, v11
	v_fmac_f32_e32 v18, v22, v10
	v_mul_f32_e32 v10, v23, v10
	v_fma_f32 v10, v22, v11, -v10
	v_cvt_f64_f32_e32 v[18:19], v18
	v_cvt_f64_f32_e32 v[10:11], v10
	v_mul_f64 v[16:17], v[18:19], s[0:1]
	v_mul_f64 v[10:11], v[10:11], s[0:1]
	v_mov_b32_e32 v18, s2
	v_addc_co_u32_e32 v15, vcc, v15, v18, vcc
	global_store_dwordx2 v[14:15], v[6:7], off
	buffer_load_dword v22, off, s[20:23], 0 offset:128 ; 4-byte Folded Reload
	buffer_load_dword v23, off, s[20:23], 0 offset:132 ; 4-byte Folded Reload
	v_add_co_u32_e32 v14, vcc, s3, v14
	v_cvt_f32_f64_e32 v6, v[16:17]
	v_cvt_f32_f64_e32 v7, v[10:11]
	v_addc_co_u32_e32 v15, vcc, v15, v18, vcc
	global_store_dwordx2 v[14:15], v[6:7], off
	buffer_load_dword v18, off, s[20:23], 0 offset:16 ; 4-byte Folded Reload
	buffer_load_dword v19, off, s[20:23], 0 offset:20 ; 4-byte Folded Reload
	v_add_co_u32_e32 v14, vcc, s3, v14
	s_waitcnt vmcnt(3)
	v_mul_f32_e32 v10, v23, v21
	v_mul_f32_e32 v16, v23, v20
	v_fmac_f32_e32 v10, v22, v20
	v_fma_f32 v16, v22, v21, -v16
	v_cvt_f64_f32_e32 v[10:11], v10
	v_cvt_f64_f32_e32 v[16:17], v16
	v_mul_f64 v[6:7], v[10:11], s[0:1]
	v_mul_f64 v[10:11], v[16:17], s[0:1]
	s_waitcnt vmcnt(0)
	v_mul_f32_e32 v16, v19, v1
	v_fmac_f32_e32 v16, v18, v0
	v_cvt_f64_f32_e32 v[16:17], v16
	v_mul_f32_e32 v0, v19, v0
	v_fma_f32 v0, v18, v1, -v0
	v_cvt_f64_f32_e32 v[0:1], v0
	v_cvt_f32_f64_e32 v6, v[6:7]
	v_cvt_f32_f64_e32 v7, v[10:11]
	v_mul_f64 v[10:11], v[16:17], s[0:1]
	v_mov_b32_e32 v16, s2
	v_addc_co_u32_e32 v15, vcc, v15, v16, vcc
	global_store_dwordx2 v[14:15], v[6:7], off
	buffer_load_dword v17, off, s[20:23], 0 offset:8 ; 4-byte Folded Reload
	buffer_load_dword v18, off, s[20:23], 0 offset:12 ; 4-byte Folded Reload
	v_mul_f64 v[0:1], v[0:1], s[0:1]
	v_mov_b32_e32 v16, s5
	v_cvt_f32_f64_e32 v6, v[10:11]
	v_add_co_u32_e32 v14, vcc, s4, v14
	v_addc_co_u32_e32 v15, vcc, v15, v16, vcc
	v_cvt_f32_f64_e32 v7, v[0:1]
	global_store_dwordx2 v[14:15], v[6:7], off
	s_waitcnt vmcnt(1)
	v_mul_f32_e32 v0, v18, v28
	v_mul_f32_e32 v10, v18, v27
	v_fmac_f32_e32 v0, v17, v27
	v_fma_f32 v10, v17, v28, -v10
	buffer_load_dword v16, off, s[20:23], 0 ; 4-byte Folded Reload
	buffer_load_dword v17, off, s[20:23], 0 offset:4 ; 4-byte Folded Reload
	v_cvt_f64_f32_e32 v[0:1], v0
	v_cvt_f64_f32_e32 v[10:11], v10
	v_mul_f64 v[0:1], v[0:1], s[0:1]
	v_mul_f64 v[6:7], v[10:11], s[0:1]
	v_cvt_f32_f64_e32 v0, v[0:1]
	v_cvt_f32_f64_e32 v1, v[6:7]
	s_waitcnt vmcnt(0)
	v_mul_f32_e32 v10, v17, v3
	v_fmac_f32_e32 v10, v16, v2
	v_cvt_f64_f32_e32 v[10:11], v10
	v_mul_f32_e32 v2, v17, v2
	v_fma_f32 v2, v16, v3, -v2
	v_cvt_f64_f32_e32 v[2:3], v2
	v_mul_f64 v[6:7], v[10:11], s[0:1]
	v_mov_b32_e32 v11, s2
	v_add_co_u32_e32 v10, vcc, s3, v14
	v_addc_co_u32_e32 v11, vcc, v15, v11, vcc
	global_store_dwordx2 v[10:11], v[0:1], off
	buffer_load_dword v15, off, s[20:23], 0 offset:72 ; 4-byte Folded Reload
	buffer_load_dword v16, off, s[20:23], 0 offset:76 ; 4-byte Folded Reload
	v_mul_f64 v[2:3], v[2:3], s[0:1]
	v_cvt_f32_f64_e32 v0, v[6:7]
	v_mov_b32_e32 v14, s2
	v_cvt_f32_f64_e32 v1, v[2:3]
	s_waitcnt vmcnt(0)
	v_mul_f32_e32 v2, v16, v9
	v_fmac_f32_e32 v2, v15, v8
	v_mul_f32_e32 v6, v16, v8
	v_add_co_u32_e32 v8, vcc, s3, v10
	v_fma_f32 v6, v15, v9, -v6
	v_addc_co_u32_e32 v9, vcc, v11, v14, vcc
	global_store_dwordx2 v[8:9], v[0:1], off
	buffer_load_dword v10, off, s[20:23], 0 offset:40 ; 4-byte Folded Reload
	buffer_load_dword v11, off, s[20:23], 0 offset:44 ; 4-byte Folded Reload
	v_cvt_f64_f32_e32 v[2:3], v2
	v_cvt_f64_f32_e32 v[6:7], v6
	v_mul_f64 v[0:1], v[2:3], s[0:1]
	v_mul_f64 v[2:3], v[6:7], s[0:1]
	v_cvt_f32_f64_e32 v0, v[0:1]
	v_cvt_f32_f64_e32 v1, v[2:3]
	s_waitcnt vmcnt(0)
	v_mul_f32_e32 v6, v11, v5
	v_fmac_f32_e32 v6, v10, v4
	v_cvt_f64_f32_e32 v[6:7], v6
	v_mul_f32_e32 v4, v11, v4
	v_fma_f32 v4, v10, v5, -v4
	v_cvt_f64_f32_e32 v[4:5], v4
	v_mul_f64 v[2:3], v[6:7], s[0:1]
	v_mov_b32_e32 v7, s2
	v_add_co_u32_e32 v6, vcc, s3, v8
	v_addc_co_u32_e32 v7, vcc, v9, v7, vcc
	global_store_dwordx2 v[6:7], v[0:1], off
	buffer_load_dword v8, off, s[20:23], 0 offset:32 ; 4-byte Folded Reload
	buffer_load_dword v9, off, s[20:23], 0 offset:36 ; 4-byte Folded Reload
	v_mul_f64 v[4:5], v[4:5], s[0:1]
	v_cvt_f32_f64_e32 v0, v[2:3]
	v_mov_b32_e32 v10, s2
	v_add_co_u32_e32 v6, vcc, s3, v6
	v_addc_co_u32_e32 v7, vcc, v7, v10, vcc
	v_cvt_f32_f64_e32 v1, v[4:5]
	global_store_dwordx2 v[6:7], v[0:1], off
	v_add_co_u32_e32 v6, vcc, s3, v6
	s_waitcnt vmcnt(1)
	v_mul_f32_e32 v2, v9, v13
	v_mul_f32_e32 v4, v9, v12
	v_fmac_f32_e32 v2, v8, v12
	v_fma_f32 v4, v8, v13, -v4
	ds_read_b64 v[8:9], v255 offset:4624
	buffer_load_dword v10, off, s[20:23], 0 offset:64 ; 4-byte Folded Reload
	buffer_load_dword v11, off, s[20:23], 0 offset:68 ; 4-byte Folded Reload
	v_cvt_f64_f32_e32 v[2:3], v2
	v_cvt_f64_f32_e32 v[4:5], v4
	v_mul_f64 v[0:1], v[2:3], s[0:1]
	v_mul_f64 v[2:3], v[4:5], s[0:1]
	v_cvt_f32_f64_e32 v0, v[0:1]
	v_cvt_f32_f64_e32 v1, v[2:3]
	s_waitcnt vmcnt(0) lgkmcnt(0)
	v_mul_f32_e32 v4, v11, v9
	v_fmac_f32_e32 v4, v10, v8
	v_mul_f32_e32 v8, v11, v8
	v_fma_f32 v8, v10, v9, -v8
	v_cvt_f64_f32_e32 v[4:5], v4
	v_cvt_f64_f32_e32 v[8:9], v8
	v_mul_f64 v[2:3], v[4:5], s[0:1]
	v_mul_f64 v[4:5], v[8:9], s[0:1]
	v_mov_b32_e32 v8, s2
	v_addc_co_u32_e32 v7, vcc, v7, v8, vcc
	global_store_dwordx2 v[6:7], v[0:1], off
	v_cvt_f32_f64_e32 v0, v[2:3]
	v_cvt_f32_f64_e32 v1, v[4:5]
	v_mov_b32_e32 v3, s2
	v_add_co_u32_e32 v2, vcc, s3, v6
	v_addc_co_u32_e32 v3, vcc, v7, v3, vcc
	global_store_dwordx2 v[2:3], v[0:1], off
.LBB0_10:
	s_endpgm
	.section	.rodata,"a",@progbits
	.p2align	6, 0x0
	.amdhsa_kernel bluestein_single_fwd_len595_dim1_sp_op_CI_CI
		.amdhsa_group_segment_fixed_size 14280
		.amdhsa_private_segment_fixed_size 420
		.amdhsa_kernarg_size 104
		.amdhsa_user_sgpr_count 6
		.amdhsa_user_sgpr_private_segment_buffer 1
		.amdhsa_user_sgpr_dispatch_ptr 0
		.amdhsa_user_sgpr_queue_ptr 0
		.amdhsa_user_sgpr_kernarg_segment_ptr 1
		.amdhsa_user_sgpr_dispatch_id 0
		.amdhsa_user_sgpr_flat_scratch_init 0
		.amdhsa_user_sgpr_private_segment_size 0
		.amdhsa_uses_dynamic_stack 0
		.amdhsa_system_sgpr_private_segment_wavefront_offset 1
		.amdhsa_system_sgpr_workgroup_id_x 1
		.amdhsa_system_sgpr_workgroup_id_y 0
		.amdhsa_system_sgpr_workgroup_id_z 0
		.amdhsa_system_sgpr_workgroup_info 0
		.amdhsa_system_vgpr_workitem_id 0
		.amdhsa_next_free_vgpr 256
		.amdhsa_next_free_sgpr 24
		.amdhsa_reserve_vcc 1
		.amdhsa_reserve_flat_scratch 0
		.amdhsa_float_round_mode_32 0
		.amdhsa_float_round_mode_16_64 0
		.amdhsa_float_denorm_mode_32 3
		.amdhsa_float_denorm_mode_16_64 3
		.amdhsa_dx10_clamp 1
		.amdhsa_ieee_mode 1
		.amdhsa_fp16_overflow 0
		.amdhsa_exception_fp_ieee_invalid_op 0
		.amdhsa_exception_fp_denorm_src 0
		.amdhsa_exception_fp_ieee_div_zero 0
		.amdhsa_exception_fp_ieee_overflow 0
		.amdhsa_exception_fp_ieee_underflow 0
		.amdhsa_exception_fp_ieee_inexact 0
		.amdhsa_exception_int_div_zero 0
	.end_amdhsa_kernel
	.text
.Lfunc_end0:
	.size	bluestein_single_fwd_len595_dim1_sp_op_CI_CI, .Lfunc_end0-bluestein_single_fwd_len595_dim1_sp_op_CI_CI
                                        ; -- End function
	.section	.AMDGPU.csdata,"",@progbits
; Kernel info:
; codeLenInByte = 53008
; NumSgprs: 28
; NumVgprs: 256
; ScratchSize: 420
; MemoryBound: 0
; FloatMode: 240
; IeeeMode: 1
; LDSByteSize: 14280 bytes/workgroup (compile time only)
; SGPRBlocks: 3
; VGPRBlocks: 63
; NumSGPRsForWavesPerEU: 28
; NumVGPRsForWavesPerEU: 256
; Occupancy: 1
; WaveLimiterHint : 1
; COMPUTE_PGM_RSRC2:SCRATCH_EN: 1
; COMPUTE_PGM_RSRC2:USER_SGPR: 6
; COMPUTE_PGM_RSRC2:TRAP_HANDLER: 0
; COMPUTE_PGM_RSRC2:TGID_X_EN: 1
; COMPUTE_PGM_RSRC2:TGID_Y_EN: 0
; COMPUTE_PGM_RSRC2:TGID_Z_EN: 0
; COMPUTE_PGM_RSRC2:TIDIG_COMP_CNT: 0
	.type	__hip_cuid_8f352ff4f8753879,@object ; @__hip_cuid_8f352ff4f8753879
	.section	.bss,"aw",@nobits
	.globl	__hip_cuid_8f352ff4f8753879
__hip_cuid_8f352ff4f8753879:
	.byte	0                               ; 0x0
	.size	__hip_cuid_8f352ff4f8753879, 1

	.ident	"AMD clang version 19.0.0git (https://github.com/RadeonOpenCompute/llvm-project roc-6.4.0 25133 c7fe45cf4b819c5991fe208aaa96edf142730f1d)"
	.section	".note.GNU-stack","",@progbits
	.addrsig
	.addrsig_sym __hip_cuid_8f352ff4f8753879
	.amdgpu_metadata
---
amdhsa.kernels:
  - .args:
      - .actual_access:  read_only
        .address_space:  global
        .offset:         0
        .size:           8
        .value_kind:     global_buffer
      - .actual_access:  read_only
        .address_space:  global
        .offset:         8
        .size:           8
        .value_kind:     global_buffer
      - .actual_access:  read_only
        .address_space:  global
        .offset:         16
        .size:           8
        .value_kind:     global_buffer
      - .actual_access:  read_only
        .address_space:  global
        .offset:         24
        .size:           8
        .value_kind:     global_buffer
      - .actual_access:  read_only
        .address_space:  global
        .offset:         32
        .size:           8
        .value_kind:     global_buffer
      - .offset:         40
        .size:           8
        .value_kind:     by_value
      - .address_space:  global
        .offset:         48
        .size:           8
        .value_kind:     global_buffer
      - .address_space:  global
        .offset:         56
        .size:           8
        .value_kind:     global_buffer
      - .address_space:  global
        .offset:         64
        .size:           8
        .value_kind:     global_buffer
      - .address_space:  global
        .offset:         72
        .size:           8
        .value_kind:     global_buffer
      - .offset:         80
        .size:           4
        .value_kind:     by_value
      - .address_space:  global
        .offset:         88
        .size:           8
        .value_kind:     global_buffer
      - .address_space:  global
        .offset:         96
        .size:           8
        .value_kind:     global_buffer
    .group_segment_fixed_size: 14280
    .kernarg_segment_align: 8
    .kernarg_segment_size: 104
    .language:       OpenCL C
    .language_version:
      - 2
      - 0
    .max_flat_workgroup_size: 51
    .name:           bluestein_single_fwd_len595_dim1_sp_op_CI_CI
    .private_segment_fixed_size: 420
    .sgpr_count:     28
    .sgpr_spill_count: 0
    .symbol:         bluestein_single_fwd_len595_dim1_sp_op_CI_CI.kd
    .uniform_work_group_size: 1
    .uses_dynamic_stack: false
    .vgpr_count:     256
    .vgpr_spill_count: 104
    .wavefront_size: 64
amdhsa.target:   amdgcn-amd-amdhsa--gfx906
amdhsa.version:
  - 1
  - 2
...

	.end_amdgpu_metadata
